;; amdgpu-corpus repo=ROCm/rocFFT kind=compiled arch=gfx1201 opt=O3
	.text
	.amdgcn_target "amdgcn-amd-amdhsa--gfx1201"
	.amdhsa_code_object_version 6
	.protected	fft_rtc_fwd_len1352_factors_2_13_13_4_wgs_52_tpt_52_halfLds_dp_op_CI_CI_unitstride_sbrr_dirReg ; -- Begin function fft_rtc_fwd_len1352_factors_2_13_13_4_wgs_52_tpt_52_halfLds_dp_op_CI_CI_unitstride_sbrr_dirReg
	.globl	fft_rtc_fwd_len1352_factors_2_13_13_4_wgs_52_tpt_52_halfLds_dp_op_CI_CI_unitstride_sbrr_dirReg
	.p2align	8
	.type	fft_rtc_fwd_len1352_factors_2_13_13_4_wgs_52_tpt_52_halfLds_dp_op_CI_CI_unitstride_sbrr_dirReg,@function
fft_rtc_fwd_len1352_factors_2_13_13_4_wgs_52_tpt_52_halfLds_dp_op_CI_CI_unitstride_sbrr_dirReg: ; @fft_rtc_fwd_len1352_factors_2_13_13_4_wgs_52_tpt_52_halfLds_dp_op_CI_CI_unitstride_sbrr_dirReg
; %bb.0:
	s_clause 0x2
	s_load_b128 s[4:7], s[0:1], 0x0
	s_load_b128 s[8:11], s[0:1], 0x58
	;; [unrolled: 1-line block ×3, first 2 shown]
	v_mul_u32_u24_e32 v1, 0x4ed, v0
	v_mov_b32_e32 v3, 0
	s_delay_alu instid0(VALU_DEP_2) | instskip(NEXT) | instid1(VALU_DEP_1)
	v_lshrrev_b32_e32 v1, 16, v1
	v_add_nc_u32_e32 v5, ttmp9, v1
	v_mov_b32_e32 v1, 0
	v_mov_b32_e32 v2, 0
	;; [unrolled: 1-line block ×3, first 2 shown]
	s_wait_kmcnt 0x0
	v_cmp_lt_u64_e64 s2, s[6:7], 2
	s_delay_alu instid0(VALU_DEP_1)
	s_and_b32 vcc_lo, exec_lo, s2
	s_cbranch_vccnz .LBB0_8
; %bb.1:
	s_load_b64 s[2:3], s[0:1], 0x10
	v_mov_b32_e32 v1, 0
	v_mov_b32_e32 v2, 0
	s_add_nc_u64 s[16:17], s[14:15], 8
	s_add_nc_u64 s[18:19], s[12:13], 8
	s_mov_b64 s[20:21], 1
	s_delay_alu instid0(VALU_DEP_1)
	v_dual_mov_b32 v169, v2 :: v_dual_mov_b32 v168, v1
	s_wait_kmcnt 0x0
	s_add_nc_u64 s[22:23], s[2:3], 8
	s_mov_b32 s3, 0
.LBB0_2:                                ; =>This Inner Loop Header: Depth=1
	s_load_b64 s[24:25], s[22:23], 0x0
                                        ; implicit-def: $vgpr170_vgpr171
	s_mov_b32 s2, exec_lo
	s_wait_kmcnt 0x0
	v_or_b32_e32 v4, s25, v6
	s_delay_alu instid0(VALU_DEP_1)
	v_cmpx_ne_u64_e32 0, v[3:4]
	s_wait_alu 0xfffe
	s_xor_b32 s26, exec_lo, s2
	s_cbranch_execz .LBB0_4
; %bb.3:                                ;   in Loop: Header=BB0_2 Depth=1
	s_cvt_f32_u32 s2, s24
	s_cvt_f32_u32 s27, s25
	s_sub_nc_u64 s[30:31], 0, s[24:25]
	s_wait_alu 0xfffe
	s_delay_alu instid0(SALU_CYCLE_1) | instskip(SKIP_1) | instid1(SALU_CYCLE_2)
	s_fmamk_f32 s2, s27, 0x4f800000, s2
	s_wait_alu 0xfffe
	v_s_rcp_f32 s2, s2
	s_delay_alu instid0(TRANS32_DEP_1) | instskip(SKIP_1) | instid1(SALU_CYCLE_2)
	s_mul_f32 s2, s2, 0x5f7ffffc
	s_wait_alu 0xfffe
	s_mul_f32 s27, s2, 0x2f800000
	s_wait_alu 0xfffe
	s_delay_alu instid0(SALU_CYCLE_2) | instskip(SKIP_1) | instid1(SALU_CYCLE_2)
	s_trunc_f32 s27, s27
	s_wait_alu 0xfffe
	s_fmamk_f32 s2, s27, 0xcf800000, s2
	s_cvt_u32_f32 s29, s27
	s_wait_alu 0xfffe
	s_delay_alu instid0(SALU_CYCLE_1) | instskip(SKIP_1) | instid1(SALU_CYCLE_2)
	s_cvt_u32_f32 s28, s2
	s_wait_alu 0xfffe
	s_mul_u64 s[34:35], s[30:31], s[28:29]
	s_wait_alu 0xfffe
	s_mul_hi_u32 s37, s28, s35
	s_mul_i32 s36, s28, s35
	s_mul_hi_u32 s2, s28, s34
	s_mul_i32 s33, s29, s34
	s_wait_alu 0xfffe
	s_add_nc_u64 s[36:37], s[2:3], s[36:37]
	s_mul_hi_u32 s27, s29, s34
	s_mul_hi_u32 s38, s29, s35
	s_add_co_u32 s2, s36, s33
	s_wait_alu 0xfffe
	s_add_co_ci_u32 s2, s37, s27
	s_mul_i32 s34, s29, s35
	s_add_co_ci_u32 s35, s38, 0
	s_wait_alu 0xfffe
	s_add_nc_u64 s[34:35], s[2:3], s[34:35]
	s_wait_alu 0xfffe
	v_add_co_u32 v4, s2, s28, s34
	s_delay_alu instid0(VALU_DEP_1) | instskip(SKIP_1) | instid1(VALU_DEP_1)
	s_cmp_lg_u32 s2, 0
	s_add_co_ci_u32 s29, s29, s35
	v_readfirstlane_b32 s28, v4
	s_wait_alu 0xfffe
	s_delay_alu instid0(VALU_DEP_1)
	s_mul_u64 s[30:31], s[30:31], s[28:29]
	s_wait_alu 0xfffe
	s_mul_hi_u32 s35, s28, s31
	s_mul_i32 s34, s28, s31
	s_mul_hi_u32 s2, s28, s30
	s_mul_i32 s33, s29, s30
	s_wait_alu 0xfffe
	s_add_nc_u64 s[34:35], s[2:3], s[34:35]
	s_mul_hi_u32 s27, s29, s30
	s_mul_hi_u32 s28, s29, s31
	s_wait_alu 0xfffe
	s_add_co_u32 s2, s34, s33
	s_add_co_ci_u32 s2, s35, s27
	s_mul_i32 s30, s29, s31
	s_add_co_ci_u32 s31, s28, 0
	s_wait_alu 0xfffe
	s_add_nc_u64 s[30:31], s[2:3], s[30:31]
	s_wait_alu 0xfffe
	v_add_co_u32 v4, s2, v4, s30
	s_delay_alu instid0(VALU_DEP_1) | instskip(SKIP_1) | instid1(VALU_DEP_1)
	s_cmp_lg_u32 s2, 0
	s_add_co_ci_u32 s2, s29, s31
	v_mul_hi_u32 v13, v5, v4
	s_wait_alu 0xfffe
	v_mad_co_u64_u32 v[7:8], null, v5, s2, 0
	v_mad_co_u64_u32 v[9:10], null, v6, v4, 0
	;; [unrolled: 1-line block ×3, first 2 shown]
	s_delay_alu instid0(VALU_DEP_3) | instskip(SKIP_1) | instid1(VALU_DEP_4)
	v_add_co_u32 v4, vcc_lo, v13, v7
	s_wait_alu 0xfffd
	v_add_co_ci_u32_e32 v7, vcc_lo, 0, v8, vcc_lo
	s_delay_alu instid0(VALU_DEP_2) | instskip(SKIP_1) | instid1(VALU_DEP_2)
	v_add_co_u32 v4, vcc_lo, v4, v9
	s_wait_alu 0xfffd
	v_add_co_ci_u32_e32 v4, vcc_lo, v7, v10, vcc_lo
	s_wait_alu 0xfffd
	v_add_co_ci_u32_e32 v7, vcc_lo, 0, v12, vcc_lo
	s_delay_alu instid0(VALU_DEP_2) | instskip(SKIP_1) | instid1(VALU_DEP_2)
	v_add_co_u32 v4, vcc_lo, v4, v11
	s_wait_alu 0xfffd
	v_add_co_ci_u32_e32 v9, vcc_lo, 0, v7, vcc_lo
	s_delay_alu instid0(VALU_DEP_2) | instskip(SKIP_1) | instid1(VALU_DEP_3)
	v_mul_lo_u32 v10, s25, v4
	v_mad_co_u64_u32 v[7:8], null, s24, v4, 0
	v_mul_lo_u32 v11, s24, v9
	s_delay_alu instid0(VALU_DEP_2) | instskip(NEXT) | instid1(VALU_DEP_2)
	v_sub_co_u32 v7, vcc_lo, v5, v7
	v_add3_u32 v8, v8, v11, v10
	s_delay_alu instid0(VALU_DEP_1) | instskip(SKIP_1) | instid1(VALU_DEP_1)
	v_sub_nc_u32_e32 v10, v6, v8
	s_wait_alu 0xfffd
	v_subrev_co_ci_u32_e64 v10, s2, s25, v10, vcc_lo
	v_add_co_u32 v11, s2, v4, 2
	s_wait_alu 0xf1ff
	v_add_co_ci_u32_e64 v12, s2, 0, v9, s2
	v_sub_co_u32 v13, s2, v7, s24
	v_sub_co_ci_u32_e32 v8, vcc_lo, v6, v8, vcc_lo
	s_wait_alu 0xf1ff
	v_subrev_co_ci_u32_e64 v10, s2, 0, v10, s2
	s_delay_alu instid0(VALU_DEP_3) | instskip(NEXT) | instid1(VALU_DEP_3)
	v_cmp_le_u32_e32 vcc_lo, s24, v13
	v_cmp_eq_u32_e64 s2, s25, v8
	s_wait_alu 0xfffd
	v_cndmask_b32_e64 v13, 0, -1, vcc_lo
	v_cmp_le_u32_e32 vcc_lo, s25, v10
	s_wait_alu 0xfffd
	v_cndmask_b32_e64 v14, 0, -1, vcc_lo
	v_cmp_le_u32_e32 vcc_lo, s24, v7
	;; [unrolled: 3-line block ×3, first 2 shown]
	s_wait_alu 0xfffd
	v_cndmask_b32_e64 v15, 0, -1, vcc_lo
	v_cmp_eq_u32_e32 vcc_lo, s25, v10
	s_wait_alu 0xf1ff
	s_delay_alu instid0(VALU_DEP_2)
	v_cndmask_b32_e64 v7, v15, v7, s2
	s_wait_alu 0xfffd
	v_cndmask_b32_e32 v10, v14, v13, vcc_lo
	v_add_co_u32 v13, vcc_lo, v4, 1
	s_wait_alu 0xfffd
	v_add_co_ci_u32_e32 v14, vcc_lo, 0, v9, vcc_lo
	s_delay_alu instid0(VALU_DEP_3) | instskip(SKIP_1) | instid1(VALU_DEP_2)
	v_cmp_ne_u32_e32 vcc_lo, 0, v10
	s_wait_alu 0xfffd
	v_cndmask_b32_e32 v8, v14, v12, vcc_lo
	v_cndmask_b32_e32 v10, v13, v11, vcc_lo
	v_cmp_ne_u32_e32 vcc_lo, 0, v7
	s_wait_alu 0xfffd
	s_delay_alu instid0(VALU_DEP_2)
	v_dual_cndmask_b32 v171, v9, v8 :: v_dual_cndmask_b32 v170, v4, v10
.LBB0_4:                                ;   in Loop: Header=BB0_2 Depth=1
	s_wait_alu 0xfffe
	s_and_not1_saveexec_b32 s2, s26
	s_cbranch_execz .LBB0_6
; %bb.5:                                ;   in Loop: Header=BB0_2 Depth=1
	v_cvt_f32_u32_e32 v4, s24
	s_sub_co_i32 s26, 0, s24
	v_mov_b32_e32 v171, v3
	s_delay_alu instid0(VALU_DEP_2) | instskip(NEXT) | instid1(TRANS32_DEP_1)
	v_rcp_iflag_f32_e32 v4, v4
	v_mul_f32_e32 v4, 0x4f7ffffe, v4
	s_delay_alu instid0(VALU_DEP_1) | instskip(SKIP_1) | instid1(VALU_DEP_1)
	v_cvt_u32_f32_e32 v4, v4
	s_wait_alu 0xfffe
	v_mul_lo_u32 v7, s26, v4
	s_delay_alu instid0(VALU_DEP_1) | instskip(NEXT) | instid1(VALU_DEP_1)
	v_mul_hi_u32 v7, v4, v7
	v_add_nc_u32_e32 v4, v4, v7
	s_delay_alu instid0(VALU_DEP_1) | instskip(NEXT) | instid1(VALU_DEP_1)
	v_mul_hi_u32 v4, v5, v4
	v_mul_lo_u32 v7, v4, s24
	v_add_nc_u32_e32 v8, 1, v4
	s_delay_alu instid0(VALU_DEP_2) | instskip(NEXT) | instid1(VALU_DEP_1)
	v_sub_nc_u32_e32 v7, v5, v7
	v_subrev_nc_u32_e32 v9, s24, v7
	v_cmp_le_u32_e32 vcc_lo, s24, v7
	s_wait_alu 0xfffd
	s_delay_alu instid0(VALU_DEP_2) | instskip(NEXT) | instid1(VALU_DEP_1)
	v_dual_cndmask_b32 v7, v7, v9 :: v_dual_cndmask_b32 v4, v4, v8
	v_cmp_le_u32_e32 vcc_lo, s24, v7
	s_delay_alu instid0(VALU_DEP_2) | instskip(SKIP_1) | instid1(VALU_DEP_1)
	v_add_nc_u32_e32 v8, 1, v4
	s_wait_alu 0xfffd
	v_cndmask_b32_e32 v170, v4, v8, vcc_lo
.LBB0_6:                                ;   in Loop: Header=BB0_2 Depth=1
	s_wait_alu 0xfffe
	s_or_b32 exec_lo, exec_lo, s2
	v_mul_lo_u32 v4, v171, s24
	s_delay_alu instid0(VALU_DEP_2)
	v_mul_lo_u32 v9, v170, s25
	s_load_b64 s[26:27], s[18:19], 0x0
	v_mad_co_u64_u32 v[7:8], null, v170, s24, 0
	s_load_b64 s[24:25], s[16:17], 0x0
	s_add_nc_u64 s[20:21], s[20:21], 1
	s_add_nc_u64 s[16:17], s[16:17], 8
	s_wait_alu 0xfffe
	v_cmp_ge_u64_e64 s2, s[20:21], s[6:7]
	s_add_nc_u64 s[18:19], s[18:19], 8
	s_add_nc_u64 s[22:23], s[22:23], 8
	v_add3_u32 v4, v8, v9, v4
	v_sub_co_u32 v5, vcc_lo, v5, v7
	s_wait_alu 0xfffd
	s_delay_alu instid0(VALU_DEP_2) | instskip(SKIP_2) | instid1(VALU_DEP_1)
	v_sub_co_ci_u32_e32 v4, vcc_lo, v6, v4, vcc_lo
	s_and_b32 vcc_lo, exec_lo, s2
	s_wait_kmcnt 0x0
	v_mul_lo_u32 v6, s26, v4
	v_mul_lo_u32 v7, s27, v5
	v_mad_co_u64_u32 v[1:2], null, s26, v5, v[1:2]
	v_mul_lo_u32 v4, s24, v4
	v_mul_lo_u32 v8, s25, v5
	v_mad_co_u64_u32 v[168:169], null, s24, v5, v[168:169]
	s_delay_alu instid0(VALU_DEP_4) | instskip(NEXT) | instid1(VALU_DEP_2)
	v_add3_u32 v2, v7, v2, v6
	v_add3_u32 v169, v8, v169, v4
	s_wait_alu 0xfffe
	s_cbranch_vccnz .LBB0_9
; %bb.7:                                ;   in Loop: Header=BB0_2 Depth=1
	v_dual_mov_b32 v5, v170 :: v_dual_mov_b32 v6, v171
	s_branch .LBB0_2
.LBB0_8:
	v_dual_mov_b32 v169, v2 :: v_dual_mov_b32 v168, v1
	v_dual_mov_b32 v171, v6 :: v_dual_mov_b32 v170, v5
.LBB0_9:
	s_load_b64 s[0:1], s[0:1], 0x28
	v_mul_hi_u32 v3, 0x4ec4ec5, v0
	s_lshl_b64 s[6:7], s[6:7], 3
                                        ; implicit-def: $vgpr190
	s_wait_kmcnt 0x0
	v_cmp_gt_u64_e32 vcc_lo, s[0:1], v[170:171]
	v_cmp_le_u64_e64 s0, s[0:1], v[170:171]
	s_delay_alu instid0(VALU_DEP_1)
	s_and_saveexec_b32 s1, s0
	s_wait_alu 0xfffe
	s_xor_b32 s0, exec_lo, s1
; %bb.10:
	v_mul_u32_u24_e32 v1, 52, v3
                                        ; implicit-def: $vgpr3
	s_delay_alu instid0(VALU_DEP_1)
	v_sub_nc_u32_e32 v190, v0, v1
                                        ; implicit-def: $vgpr0
                                        ; implicit-def: $vgpr1_vgpr2
; %bb.11:
	s_wait_alu 0xfffe
	s_or_saveexec_b32 s1, s0
	s_add_nc_u64 s[2:3], s[14:15], s[6:7]
                                        ; implicit-def: $vgpr84_vgpr85
                                        ; implicit-def: $vgpr100_vgpr101
                                        ; implicit-def: $vgpr8_vgpr9
                                        ; implicit-def: $vgpr12_vgpr13
                                        ; implicit-def: $vgpr24_vgpr25
                                        ; implicit-def: $vgpr52_vgpr53
                                        ; implicit-def: $vgpr32_vgpr33
                                        ; implicit-def: $vgpr36_vgpr37
                                        ; implicit-def: $vgpr48_vgpr49
                                        ; implicit-def: $vgpr60_vgpr61
                                        ; implicit-def: $vgpr72_vgpr73
                                        ; implicit-def: $vgpr80_vgpr81
                                        ; implicit-def: $vgpr96_vgpr97
                                        ; implicit-def: $vgpr88_vgpr89
                                        ; implicit-def: $vgpr92_vgpr93
                                        ; implicit-def: $vgpr76_vgpr77
                                        ; implicit-def: $vgpr64_vgpr65
                                        ; implicit-def: $vgpr56_vgpr57
                                        ; implicit-def: $vgpr44_vgpr45
                                        ; implicit-def: $vgpr40_vgpr41
                                        ; implicit-def: $vgpr68_vgpr69
                                        ; implicit-def: $vgpr28_vgpr29
                                        ; implicit-def: $vgpr20_vgpr21
                                        ; implicit-def: $vgpr16_vgpr17
                                        ; implicit-def: $vgpr104_vgpr105
                                        ; implicit-def: $vgpr4_vgpr5
	s_wait_alu 0xfffe
	s_xor_b32 exec_lo, exec_lo, s1
	s_cbranch_execz .LBB0_13
; %bb.12:
	s_add_nc_u64 s[6:7], s[12:13], s[6:7]
	v_lshlrev_b64_e32 v[1:2], 4, v[1:2]
	s_load_b64 s[6:7], s[6:7], 0x0
	s_wait_kmcnt 0x0
	v_mul_lo_u32 v6, s7, v170
	v_mul_lo_u32 v7, s6, v171
	v_mad_co_u64_u32 v[4:5], null, s6, v170, 0
	s_delay_alu instid0(VALU_DEP_1) | instskip(SKIP_1) | instid1(VALU_DEP_2)
	v_add3_u32 v5, v5, v7, v6
	v_mul_u32_u24_e32 v6, 52, v3
	v_lshlrev_b64_e32 v[3:4], 4, v[4:5]
	s_delay_alu instid0(VALU_DEP_2) | instskip(NEXT) | instid1(VALU_DEP_2)
	v_sub_nc_u32_e32 v190, v0, v6
	v_add_co_u32 v0, s0, s8, v3
	s_wait_alu 0xf1ff
	s_delay_alu instid0(VALU_DEP_3) | instskip(NEXT) | instid1(VALU_DEP_3)
	v_add_co_ci_u32_e64 v3, s0, s9, v4, s0
	v_lshlrev_b32_e32 v4, 4, v190
	s_delay_alu instid0(VALU_DEP_3) | instskip(SKIP_1) | instid1(VALU_DEP_3)
	v_add_co_u32 v0, s0, v0, v1
	s_wait_alu 0xf1ff
	v_add_co_ci_u32_e64 v1, s0, v3, v2, s0
	s_delay_alu instid0(VALU_DEP_2) | instskip(SKIP_1) | instid1(VALU_DEP_2)
	v_add_co_u32 v0, s0, v0, v4
	s_wait_alu 0xf1ff
	v_add_co_ci_u32_e64 v1, s0, 0, v1, s0
	s_clause 0x19
	global_load_b128 v[2:5], v[0:1], off
	global_load_b128 v[98:101], v[0:1], off offset:832
	global_load_b128 v[102:105], v[0:1], off offset:11648
	;; [unrolled: 1-line block ×25, first 2 shown]
.LBB0_13:
	s_or_b32 exec_lo, exec_lo, s1
	s_wait_loadcnt 0xf
	v_add_f64_e64 v[68:69], v[52:53], -v[68:69]
	v_add_f64_e64 v[110:111], v[50:51], -v[66:67]
	v_add_f64_e64 v[106:107], v[98:99], -v[102:103]
	v_add_f64_e64 v[102:103], v[100:101], -v[104:105]
	v_add_nc_u32_e32 v198, 52, v190
	v_add_nc_u32_e32 v255, 0x104, v190
	s_wait_loadcnt 0xd
	v_add_f64_e64 v[32:33], v[40:41], -v[32:33]
	v_lshl_add_u32 v189, v190, 3, 0
	v_and_b32_e32 v197, 1, v190
	s_mov_b32 s30, 0x4267c47c
	s_mov_b32 s18, 0x42a4c3d2
	;; [unrolled: 1-line block ×3, first 2 shown]
	v_add_nc_u32_e32 v188, 0x400, v189
	v_add_nc_u32_e32 v196, 0x800, v189
	v_add_nc_u32_e32 v193, 0x1000, v189
	v_add_nc_u32_e32 v187, 0x1400, v189
	v_add_nc_u32_e32 v195, 0x1800, v189
	v_add_nc_u32_e32 v194, 0x2000, v189
	v_add_nc_u32_e32 v186, 0x2400, v189
	s_mov_b32 s16, 0x2ef20147
	s_mov_b32 s22, 0x24c2f84
	;; [unrolled: 1-line block ×19, first 2 shown]
	v_fma_f64 v[66:67], v[52:53], 2.0, -v[68:69]
	s_wait_loadcnt 0x3
	v_add_f64_e64 v[52:53], v[2:3], -v[82:83]
	v_fma_f64 v[108:109], v[50:51], 2.0, -v[110:111]
	v_lshl_add_u32 v82, v190, 4, 0
	v_fma_f64 v[104:105], v[98:99], 2.0, -v[106:107]
	v_fma_f64 v[100:101], v[100:101], 2.0, -v[102:103]
	s_mov_b32 s21, 0xbfe7f3cc
	s_mov_b32 s25, 0xbfef11f4
	;; [unrolled: 1-line block ×7, first 2 shown]
	s_wait_alu 0xfffe
	s_mov_b32 s34, s30
	s_mov_b32 s37, 0x3fefc445
	;; [unrolled: 1-line block ×7, first 2 shown]
	v_cmp_gt_u32_e64 s0, 26, v190
	v_fma_f64 v[50:51], v[2:3], 2.0, -v[52:53]
	v_add_f64_e64 v[2:3], v[14:15], -v[6:7]
	v_lshl_add_u32 v6, v198, 4, 0
	v_lshl_add_u32 v7, v255, 4, 0
	s_delay_alu instid0(VALU_DEP_3)
	v_fma_f64 v[0:1], v[14:15], 2.0, -v[2:3]
	v_add_f64_e64 v[14:15], v[12:13], -v[20:21]
	ds_store_b128 v82, v[50:53]
	ds_store_b128 v82, v[0:3] offset:1664
	v_add_f64_e64 v[2:3], v[10:11], -v[18:19]
	v_add_f64_e64 v[52:53], v[26:27], -v[22:23]
	;; [unrolled: 1-line block ×4, first 2 shown]
	v_fma_f64 v[12:13], v[12:13], 2.0, -v[14:15]
	v_fma_f64 v[0:1], v[10:11], 2.0, -v[2:3]
	;; [unrolled: 1-line block ×3, first 2 shown]
	v_add_nc_u32_e32 v10, 0x138, v190
	v_add_f64_e64 v[26:27], v[56:57], -v[48:49]
	v_fma_f64 v[20:21], v[36:37], 2.0, -v[22:23]
	ds_store_b128 v82, v[0:3] offset:2496
	ds_store_b128 v82, v[50:53] offset:3328
	v_add_f64_e64 v[2:3], v[38:39], -v[30:31]
	v_lshl_add_u32 v10, v10, 4, 0
	ds_store_b128 v6, v[104:107]
	ds_store_b128 v7, v[108:111]
	v_add_f64_e64 v[52:53], v[54:55], -v[46:47]
	v_fma_f64 v[30:31], v[40:41], 2.0, -v[32:33]
	v_fma_f64 v[24:25], v[56:57], 2.0, -v[26:27]
	;; [unrolled: 1-line block ×3, first 2 shown]
	s_wait_loadcnt 0x1
	v_add_f64_e64 v[38:39], v[80:81], -v[92:93]
	v_fma_f64 v[50:51], v[54:55], 2.0, -v[52:53]
	ds_store_b128 v10, v[0:3]
	v_add_f64_e64 v[2:3], v[34:35], -v[42:43]
	s_wait_loadcnt 0x0
	v_add_f64_e64 v[42:43], v[88:89], -v[96:97]
	v_fma_f64 v[36:37], v[80:81], 2.0, -v[38:39]
	s_delay_alu instid0(VALU_DEP_3) | instskip(SKIP_1) | instid1(VALU_DEP_4)
	v_fma_f64 v[0:1], v[34:35], 2.0, -v[2:3]
	v_add_f64_e64 v[34:35], v[76:77], -v[72:73]
	v_fma_f64 v[40:41], v[88:89], 2.0, -v[42:43]
	ds_store_b128 v82, v[0:3] offset:5824
	ds_store_b128 v82, v[50:53] offset:6656
	v_add_f64_e64 v[2:3], v[58:59], -v[62:63]
	v_add_f64_e64 v[52:53], v[74:75], -v[70:71]
	s_delay_alu instid0(VALU_DEP_2) | instskip(NEXT) | instid1(VALU_DEP_2)
	v_fma_f64 v[0:1], v[58:59], 2.0, -v[2:3]
	v_fma_f64 v[50:51], v[74:75], 2.0, -v[52:53]
	ds_store_b128 v82, v[0:3] offset:7488
	ds_store_b128 v82, v[50:53] offset:8320
	v_add_f64_e64 v[2:3], v[78:79], -v[90:91]
	v_add_f64_e64 v[52:53], v[86:87], -v[94:95]
	s_delay_alu instid0(VALU_DEP_2) | instskip(NEXT) | instid1(VALU_DEP_2)
	v_fma_f64 v[0:1], v[78:79], 2.0, -v[2:3]
	v_fma_f64 v[50:51], v[86:87], 2.0, -v[52:53]
	ds_store_b128 v82, v[0:3] offset:9152
	ds_store_b128 v82, v[50:53] offset:9984
	s_load_b64 s[2:3], s[2:3], 0x0
	global_wb scope:SCOPE_SE
	s_wait_dscnt 0x0
	s_wait_kmcnt 0x0
	s_barrier_signal -1
	s_barrier_wait -1
	global_inv scope:SCOPE_SE
	ds_load_2addr_b64 v[0:3], v189 offset1:52
	ds_load_2addr_b64 v[50:53], v189 offset0:104 offset1:156
	ds_load_2addr_b64 v[104:107], v188 offset0:80 offset1:132
	;; [unrolled: 1-line block ×12, first 2 shown]
	global_wb scope:SCOPE_SE
	s_wait_dscnt 0x0
	s_barrier_signal -1
	s_barrier_wait -1
	global_inv scope:SCOPE_SE
	ds_store_b128 v6, v[100:103]
	ds_store_b128 v7, v[66:69]
	v_add_f64_e64 v[6:7], v[4:5], -v[84:85]
	ds_store_b128 v10, v[30:33]
	v_add_f64_e64 v[10:11], v[16:17], -v[8:9]
	v_add_f64_e64 v[30:31], v[60:61], -v[64:65]
	v_fma_f64 v[32:33], v[76:77], 2.0, -v[34:35]
	v_fma_f64 v[4:5], v[4:5], 2.0, -v[6:7]
	s_delay_alu instid0(VALU_DEP_4)
	v_fma_f64 v[8:9], v[16:17], 2.0, -v[10:11]
	v_fma_f64 v[16:17], v[28:29], 2.0, -v[18:19]
	;; [unrolled: 1-line block ×3, first 2 shown]
	ds_store_b128 v82, v[4:7]
	ds_store_b128 v82, v[8:11] offset:1664
	ds_store_b128 v82, v[12:15] offset:2496
	ds_store_b128 v82, v[16:19] offset:3328
	ds_store_b128 v82, v[20:23] offset:5824
	ds_store_b128 v82, v[24:27] offset:6656
	ds_store_b128 v82, v[28:31] offset:7488
	ds_store_b128 v82, v[32:35] offset:8320
	ds_store_b128 v82, v[36:39] offset:9152
	ds_store_b128 v82, v[40:43] offset:9984
	v_mul_u32_u24_e32 v4, 12, v197
	global_wb scope:SCOPE_SE
	s_wait_dscnt 0x0
	s_barrier_signal -1
	s_barrier_wait -1
	global_inv scope:SCOPE_SE
	v_lshlrev_b32_e32 v86, 4, v4
	s_clause 0x1
	global_load_b128 v[4:7], v86, s[4:5]
	global_load_b128 v[8:11], v86, s[4:5] offset:16
	ds_load_2addr_b64 v[12:15], v189 offset0:104 offset1:156
	s_wait_loadcnt_dscnt 0x100
	v_mul_f64_e32 v[16:17], v[12:13], v[6:7]
	s_delay_alu instid0(VALU_DEP_1) | instskip(SKIP_1) | instid1(VALU_DEP_2)
	v_fma_f64 v[98:99], v[50:51], v[4:5], -v[16:17]
	v_mul_f64_e32 v[16:17], v[14:15], v[6:7]
	v_add_f64_e32 v[176:177], v[0:1], v[98:99]
	s_delay_alu instid0(VALU_DEP_2) | instskip(SKIP_2) | instid1(VALU_DEP_3)
	v_fma_f64 v[96:97], v[52:53], v[4:5], -v[16:17]
	v_mul_f64_e32 v[16:17], v[50:51], v[6:7]
	v_mul_f64_e32 v[6:7], v[52:53], v[6:7]
	v_add_f64_e32 v[164:165], v[2:3], v[96:97]
	s_delay_alu instid0(VALU_DEP_3) | instskip(NEXT) | instid1(VALU_DEP_3)
	v_fma_f64 v[50:51], v[12:13], v[4:5], v[16:17]
	v_fma_f64 v[94:95], v[14:15], v[4:5], v[6:7]
	ds_load_2addr_b64 v[12:15], v188 offset0:80 offset1:132
	s_wait_loadcnt_dscnt 0x0
	v_mul_f64_e32 v[4:5], v[12:13], v[10:11]
	s_delay_alu instid0(VALU_DEP_1) | instskip(SKIP_1) | instid1(VALU_DEP_1)
	v_fma_f64 v[6:7], v[104:105], v[8:9], -v[4:5]
	v_mul_f64_e32 v[4:5], v[14:15], v[10:11]
	v_fma_f64 v[52:53], v[106:107], v[8:9], -v[4:5]
	v_mul_f64_e32 v[4:5], v[104:105], v[10:11]
	v_mul_f64_e32 v[10:11], v[106:107], v[10:11]
	s_delay_alu instid0(VALU_DEP_3) | instskip(NEXT) | instid1(VALU_DEP_3)
	v_add_f64_e32 v[164:165], v[164:165], v[52:53]
	v_fma_f64 v[4:5], v[12:13], v[8:9], v[4:5]
	s_delay_alu instid0(VALU_DEP_3)
	v_fma_f64 v[54:55], v[14:15], v[8:9], v[10:11]
	s_clause 0x1
	global_load_b128 v[14:17], v86, s[4:5] offset:32
	global_load_b128 v[18:21], v86, s[4:5] offset:48
	ds_load_2addr_b64 v[8:11], v196 offset0:56 offset1:108
	s_wait_loadcnt_dscnt 0x100
	v_mul_f64_e32 v[22:23], v[10:11], v[16:17]
	v_mul_f64_e32 v[12:13], v[8:9], v[16:17]
	s_delay_alu instid0(VALU_DEP_2) | instskip(SKIP_2) | instid1(VALU_DEP_4)
	v_fma_f64 v[58:59], v[110:111], v[14:15], -v[22:23]
	v_mul_f64_e32 v[22:23], v[108:109], v[16:17]
	v_mul_f64_e32 v[16:17], v[110:111], v[16:17]
	v_fma_f64 v[12:13], v[108:109], v[14:15], -v[12:13]
	s_delay_alu instid0(VALU_DEP_4) | instskip(NEXT) | instid1(VALU_DEP_4)
	v_add_f64_e32 v[164:165], v[164:165], v[58:59]
	v_fma_f64 v[8:9], v[8:9], v[14:15], v[22:23]
	ds_load_2addr_b64 v[22:25], v196 offset0:160 offset1:212
	v_fma_f64 v[56:57], v[10:11], v[14:15], v[16:17]
	s_wait_loadcnt 0x0
	v_mul_f64_e32 v[16:17], v[114:115], v[20:21]
	s_wait_dscnt 0x0
	v_mul_f64_e32 v[10:11], v[22:23], v[20:21]
	s_delay_alu instid0(VALU_DEP_2) | instskip(NEXT) | instid1(VALU_DEP_2)
	v_fma_f64 v[60:61], v[24:25], v[18:19], v[16:17]
	v_fma_f64 v[14:15], v[112:113], v[18:19], -v[10:11]
	v_mul_f64_e32 v[10:11], v[24:25], v[20:21]
	s_delay_alu instid0(VALU_DEP_1) | instskip(SKIP_1) | instid1(VALU_DEP_2)
	v_fma_f64 v[62:63], v[114:115], v[18:19], -v[10:11]
	v_mul_f64_e32 v[10:11], v[112:113], v[20:21]
	v_add_f64_e32 v[164:165], v[164:165], v[62:63]
	s_delay_alu instid0(VALU_DEP_2)
	v_fma_f64 v[10:11], v[22:23], v[18:19], v[10:11]
	s_clause 0x1
	global_load_b128 v[20:23], v86, s[4:5] offset:64
	global_load_b128 v[24:27], v86, s[4:5] offset:80
	ds_load_2addr_b64 v[28:31], v193 offset0:8 offset1:60
	s_wait_loadcnt_dscnt 0x100
	v_mul_f64_e32 v[16:17], v[28:29], v[22:23]
	s_delay_alu instid0(VALU_DEP_1) | instskip(SKIP_1) | instid1(VALU_DEP_1)
	v_fma_f64 v[18:19], v[116:117], v[20:21], -v[16:17]
	v_mul_f64_e32 v[16:17], v[30:31], v[22:23]
	v_fma_f64 v[66:67], v[118:119], v[20:21], -v[16:17]
	v_mul_f64_e32 v[16:17], v[116:117], v[22:23]
	v_mul_f64_e32 v[22:23], v[118:119], v[22:23]
	s_delay_alu instid0(VALU_DEP_3) | instskip(NEXT) | instid1(VALU_DEP_3)
	v_add_f64_e32 v[164:165], v[164:165], v[66:67]
	v_fma_f64 v[16:17], v[28:29], v[20:21], v[16:17]
	s_delay_alu instid0(VALU_DEP_3) | instskip(SKIP_3) | instid1(VALU_DEP_1)
	v_fma_f64 v[64:65], v[30:31], v[20:21], v[22:23]
	ds_load_2addr_b64 v[28:31], v193 offset0:112 offset1:164
	s_wait_loadcnt_dscnt 0x0
	v_mul_f64_e32 v[20:21], v[28:29], v[26:27]
	v_fma_f64 v[22:23], v[120:121], v[24:25], -v[20:21]
	v_mul_f64_e32 v[20:21], v[30:31], v[26:27]
	s_delay_alu instid0(VALU_DEP_1) | instskip(SKIP_2) | instid1(VALU_DEP_3)
	v_fma_f64 v[68:69], v[122:123], v[24:25], -v[20:21]
	v_mul_f64_e32 v[20:21], v[120:121], v[26:27]
	v_mul_f64_e32 v[26:27], v[122:123], v[26:27]
	v_add_f64_e32 v[164:165], v[164:165], v[68:69]
	s_delay_alu instid0(VALU_DEP_3) | instskip(NEXT) | instid1(VALU_DEP_3)
	v_fma_f64 v[20:21], v[28:29], v[24:25], v[20:21]
	v_fma_f64 v[70:71], v[30:31], v[24:25], v[26:27]
	s_clause 0x1
	global_load_b128 v[30:33], v86, s[4:5] offset:96
	global_load_b128 v[34:37], v86, s[4:5] offset:112
	ds_load_2addr_b64 v[24:27], v187 offset0:88 offset1:140
	s_wait_loadcnt_dscnt 0x100
	v_mul_f64_e32 v[38:39], v[26:27], v[32:33]
	v_mul_f64_e32 v[28:29], v[24:25], v[32:33]
	s_delay_alu instid0(VALU_DEP_2) | instskip(SKIP_2) | instid1(VALU_DEP_4)
	v_fma_f64 v[74:75], v[126:127], v[30:31], -v[38:39]
	v_mul_f64_e32 v[38:39], v[124:125], v[32:33]
	v_mul_f64_e32 v[32:33], v[126:127], v[32:33]
	v_fma_f64 v[28:29], v[124:125], v[30:31], -v[28:29]
	s_delay_alu instid0(VALU_DEP_4) | instskip(NEXT) | instid1(VALU_DEP_4)
	v_add_f64_e32 v[164:165], v[164:165], v[74:75]
	v_fma_f64 v[24:25], v[24:25], v[30:31], v[38:39]
	ds_load_2addr_b64 v[38:41], v195 offset0:64 offset1:116
	v_fma_f64 v[72:73], v[26:27], v[30:31], v[32:33]
	s_wait_loadcnt 0x0
	v_mul_f64_e32 v[32:33], v[130:131], v[36:37]
	v_add_f64_e32 v[243:244], v[22:23], v[28:29]
	s_wait_dscnt 0x0
	v_mul_f64_e32 v[26:27], v[38:39], v[36:37]
	s_delay_alu instid0(VALU_DEP_3) | instskip(NEXT) | instid1(VALU_DEP_2)
	v_fma_f64 v[76:77], v[40:41], v[34:35], v[32:33]
	v_fma_f64 v[30:31], v[128:129], v[34:35], -v[26:27]
	v_mul_f64_e32 v[26:27], v[40:41], v[36:37]
	s_delay_alu instid0(VALU_DEP_2) | instskip(NEXT) | instid1(VALU_DEP_2)
	v_add_f64_e32 v[235:236], v[18:19], v[30:31]
	v_fma_f64 v[78:79], v[130:131], v[34:35], -v[26:27]
	v_mul_f64_e32 v[26:27], v[128:129], v[36:37]
	s_delay_alu instid0(VALU_DEP_2) | instskip(NEXT) | instid1(VALU_DEP_2)
	v_add_f64_e32 v[164:165], v[164:165], v[78:79]
	v_fma_f64 v[26:27], v[38:39], v[34:35], v[26:27]
	s_clause 0x1
	global_load_b128 v[34:37], v86, s[4:5] offset:128
	global_load_b128 v[44:47], v86, s[4:5] offset:144
	ds_load_2addr_b64 v[40:43], v195 offset0:168 offset1:220
	s_wait_loadcnt_dscnt 0x100
	v_mul_f64_e32 v[32:33], v[40:41], v[36:37]
	s_delay_alu instid0(VALU_DEP_1) | instskip(SKIP_1) | instid1(VALU_DEP_1)
	v_fma_f64 v[38:39], v[132:133], v[34:35], -v[32:33]
	v_mul_f64_e32 v[32:33], v[42:43], v[36:37]
	v_fma_f64 v[82:83], v[134:135], v[34:35], -v[32:33]
	v_mul_f64_e32 v[32:33], v[132:133], v[36:37]
	v_mul_f64_e32 v[36:37], v[134:135], v[36:37]
	s_delay_alu instid0(VALU_DEP_3) | instskip(NEXT) | instid1(VALU_DEP_3)
	v_add_f64_e32 v[164:165], v[164:165], v[82:83]
	v_fma_f64 v[32:33], v[40:41], v[34:35], v[32:33]
	s_delay_alu instid0(VALU_DEP_3) | instskip(SKIP_3) | instid1(VALU_DEP_1)
	v_fma_f64 v[80:81], v[42:43], v[34:35], v[36:37]
	ds_load_2addr_b64 v[34:37], v194 offset0:16 offset1:68
	s_wait_loadcnt_dscnt 0x0
	v_mul_f64_e32 v[40:41], v[34:35], v[46:47]
	v_fma_f64 v[42:43], v[136:137], v[44:45], -v[40:41]
	v_mul_f64_e32 v[40:41], v[36:37], v[46:47]
	s_delay_alu instid0(VALU_DEP_1) | instskip(SKIP_2) | instid1(VALU_DEP_3)
	v_fma_f64 v[88:89], v[138:139], v[44:45], -v[40:41]
	v_mul_f64_e32 v[40:41], v[136:137], v[46:47]
	v_mul_f64_e32 v[46:47], v[138:139], v[46:47]
	v_add_f64_e32 v[164:165], v[164:165], v[88:89]
	s_delay_alu instid0(VALU_DEP_3) | instskip(NEXT) | instid1(VALU_DEP_3)
	v_fma_f64 v[34:35], v[34:35], v[44:45], v[40:41]
	v_fma_f64 v[84:85], v[36:37], v[44:45], v[46:47]
	s_clause 0x1
	global_load_b128 v[46:49], v86, s[4:5] offset:160
	global_load_b128 v[100:103], v86, s[4:5] offset:176
	ds_load_2addr_b64 v[104:107], v194 offset0:120 offset1:172
	s_wait_loadcnt_dscnt 0x100
	v_mul_f64_e32 v[36:37], v[104:105], v[48:49]
	v_mul_f64_e32 v[40:41], v[142:143], v[48:49]
	s_wait_loadcnt 0x0
	v_mul_f64_e32 v[90:91], v[146:147], v[102:103]
	s_delay_alu instid0(VALU_DEP_3) | instskip(SKIP_1) | instid1(VALU_DEP_4)
	v_fma_f64 v[44:45], v[140:141], v[46:47], -v[36:37]
	v_mul_f64_e32 v[36:37], v[106:107], v[48:49]
	v_fma_f64 v[86:87], v[106:107], v[46:47], v[40:41]
	s_delay_alu instid0(VALU_DEP_2) | instskip(SKIP_1) | instid1(VALU_DEP_2)
	v_fma_f64 v[92:93], v[142:143], v[46:47], -v[36:37]
	v_mul_f64_e32 v[36:37], v[140:141], v[48:49]
	v_add_f64_e32 v[164:165], v[164:165], v[92:93]
	s_delay_alu instid0(VALU_DEP_2) | instskip(SKIP_4) | instid1(VALU_DEP_2)
	v_fma_f64 v[36:37], v[104:105], v[46:47], v[36:37]
	ds_load_2addr_b64 v[104:107], v186 offset0:96 offset1:148
	s_wait_dscnt 0x0
	v_mul_f64_e32 v[40:41], v[104:105], v[102:103]
	v_fma_f64 v[90:91], v[106:107], v[100:101], v[90:91]
	v_fma_f64 v[48:49], v[144:145], v[100:101], -v[40:41]
	v_mul_f64_e32 v[40:41], v[106:107], v[102:103]
	s_delay_alu instid0(VALU_DEP_2) | instskip(NEXT) | instid1(VALU_DEP_2)
	v_add_f64_e32 v[112:113], v[98:99], v[48:49]
	v_fma_f64 v[46:47], v[146:147], v[100:101], -v[40:41]
	v_mul_f64_e32 v[40:41], v[144:145], v[102:103]
	s_delay_alu instid0(VALU_DEP_2) | instskip(NEXT) | instid1(VALU_DEP_2)
	v_add_f64_e32 v[136:137], v[96:97], v[46:47]
	v_fma_f64 v[40:41], v[104:105], v[100:101], v[40:41]
	s_delay_alu instid0(VALU_DEP_1) | instskip(NEXT) | instid1(VALU_DEP_1)
	v_add_f64_e64 v[100:101], v[50:51], -v[40:41]
	v_mul_f64_e32 v[102:103], s[30:31], v[100:101]
	v_mul_f64_e32 v[104:105], s[18:19], v[100:101]
	;; [unrolled: 1-line block ×6, first 2 shown]
	v_fma_f64 v[114:115], v[112:113], s[6:7], -v[102:103]
	v_fma_f64 v[102:103], v[112:113], s[6:7], v[102:103]
	v_fma_f64 v[116:117], v[112:113], s[8:9], -v[104:105]
	v_fma_f64 v[104:105], v[112:113], s[8:9], v[104:105]
	v_fma_f64 v[118:119], v[112:113], s[12:13], -v[106:107]
	v_fma_f64 v[106:107], v[112:113], s[12:13], v[106:107]
	v_fma_f64 v[120:121], v[112:113], s[14:15], -v[108:109]
	v_fma_f64 v[108:109], v[112:113], s[14:15], v[108:109]
	v_fma_f64 v[122:123], v[112:113], s[20:21], -v[110:111]
	v_fma_f64 v[110:111], v[112:113], s[20:21], v[110:111]
	v_fma_f64 v[124:125], v[112:113], s[24:25], -v[100:101]
	v_fma_f64 v[100:101], v[112:113], s[24:25], v[100:101]
	v_add_f64_e64 v[112:113], v[94:95], -v[90:91]
	v_add_f64_e32 v[174:175], v[0:1], v[114:115]
	v_add_f64_e32 v[166:167], v[0:1], v[102:103]
	;; [unrolled: 1-line block ×12, first 2 shown]
	v_mul_f64_e32 v[126:127], s[30:31], v[112:113]
	v_mul_f64_e32 v[128:129], s[18:19], v[112:113]
	;; [unrolled: 1-line block ×6, first 2 shown]
	v_add_f64_e64 v[0:1], v[98:99], -v[48:49]
	v_add_f64_e32 v[106:107], v[50:51], v[40:41]
	v_add_f64_e32 v[120:121], v[94:95], v[90:91]
	v_fma_f64 v[138:139], v[136:137], s[6:7], -v[126:127]
	v_fma_f64 v[126:127], v[136:137], s[6:7], v[126:127]
	v_fma_f64 v[140:141], v[136:137], s[8:9], -v[128:129]
	v_fma_f64 v[128:129], v[136:137], s[8:9], v[128:129]
	;; [unrolled: 2-line block ×6, first 2 shown]
	v_mul_f64_e32 v[98:99], s[18:19], v[0:1]
	v_mul_f64_e32 v[100:101], s[28:29], v[0:1]
	;; [unrolled: 1-line block ×4, first 2 shown]
	v_add_f64_e32 v[172:173], v[2:3], v[138:139]
	v_add_f64_e32 v[142:143], v[2:3], v[126:127]
	;; [unrolled: 1-line block ×12, first 2 shown]
	v_mul_f64_e32 v[2:3], s[30:31], v[0:1]
	v_mul_f64_e32 v[0:1], s[26:27], v[0:1]
	v_fma_f64 v[112:113], v[106:107], s[8:9], v[98:99]
	v_fma_f64 v[98:99], v[106:107], s[8:9], -v[98:99]
	v_fma_f64 v[114:115], v[106:107], s[12:13], v[100:101]
	v_fma_f64 v[100:101], v[106:107], s[12:13], -v[100:101]
	;; [unrolled: 2-line block ×6, first 2 shown]
	v_add_f64_e64 v[0:1], v[96:97], -v[46:47]
	v_add_f64_e32 v[46:47], v[164:165], v[46:47]
	s_delay_alu instid0(VALU_DEP_2)
	v_mul_f64_e32 v[2:3], s[30:31], v[0:1]
	v_mul_f64_e32 v[102:103], s[28:29], v[0:1]
	v_mul_f64_e32 v[104:105], s[16:17], v[0:1]
	v_mul_f64_e32 v[96:97], s[18:19], v[0:1]
	v_mul_f64_e32 v[116:117], s[22:23], v[0:1]
	v_mul_f64_e32 v[0:1], s[26:27], v[0:1]
	v_fma_f64 v[213:214], v[120:121], s[6:7], -v[2:3]
	v_fma_f64 v[217:218], v[120:121], s[12:13], v[102:103]
	v_fma_f64 v[219:220], v[120:121], s[12:13], -v[102:103]
	v_fma_f64 v[221:222], v[120:121], s[14:15], v[104:105]
	v_fma_f64 v[223:224], v[120:121], s[14:15], -v[104:105]
	ds_load_2addr_b64 v[102:105], v189 offset1:52
	v_fma_f64 v[211:212], v[120:121], s[6:7], v[2:3]
	v_fma_f64 v[215:216], v[120:121], s[8:9], v[96:97]
	v_fma_f64 v[96:97], v[120:121], s[8:9], -v[96:97]
	v_fma_f64 v[227:228], v[120:121], s[20:21], -v[116:117]
	;; [unrolled: 1-line block ×3, first 2 shown]
	v_fma_f64 v[225:226], v[120:121], s[20:21], v[116:117]
	v_fma_f64 v[229:230], v[120:121], s[24:25], v[0:1]
	s_wait_dscnt 0x0
	v_add_f64_e32 v[2:3], v[102:103], v[50:51]
	v_add_f64_e32 v[136:137], v[102:103], v[118:119]
	;; [unrolled: 1-line block ×10, first 2 shown]
	v_lshrrev_b32_e32 v94, 1, v190
	v_add_f64_e32 v[122:123], v[102:103], v[98:99]
	v_add_f64_e32 v[124:125], v[102:103], v[100:101]
	;; [unrolled: 1-line block ×4, first 2 shown]
	v_mul_u32_u24_e32 v94, 26, v94
	v_add_f64_e32 v[110:111], v[104:105], v[221:222]
	v_add_f64_e32 v[126:127], v[102:103], v[126:127]
	;; [unrolled: 1-line block ×4, first 2 shown]
	v_add_f64_e64 v[211:212], v[4:5], -v[36:37]
	v_add_f64_e32 v[114:115], v[104:105], v[215:216]
	v_or_b32_e32 v94, v94, v197
	v_add_f64_e32 v[108:109], v[104:105], v[225:226]
	v_add_f64_e32 v[106:107], v[104:105], v[229:230]
	;; [unrolled: 1-line block ×3, first 2 shown]
	scratch_store_b64 off, v[50:51], off    ; 8-byte Folded Spill
	v_add_f64_e32 v[50:51], v[104:105], v[96:97]
	v_mul_f64_e32 v[213:214], s[16:17], v[211:212]
	v_add_f64_e32 v[2:3], v[2:3], v[8:9]
	scratch_store_b64 off, v[50:51], off offset:8 ; 8-byte Folded Spill
	v_add_f64_e32 v[50:51], v[104:105], v[219:220]
	v_add_f64_e32 v[219:220], v[12:13], v[42:43]
	;; [unrolled: 1-line block ×3, first 2 shown]
	scratch_store_b64 off, v[50:51], off offset:16 ; 8-byte Folded Spill
	v_add_f64_e32 v[50:51], v[104:105], v[223:224]
	v_add_f64_e32 v[2:3], v[2:3], v[16:17]
	scratch_store_b64 off, v[50:51], off offset:24 ; 8-byte Folded Spill
	v_add_f64_e32 v[50:51], v[104:105], v[227:228]
	v_add_f64_e32 v[227:228], v[14:15], v[38:39]
	v_add_f64_e32 v[2:3], v[2:3], v[20:21]
	scratch_store_b64 off, v[50:51], off offset:32 ; 8-byte Folded Spill
	v_add_f64_e32 v[50:51], v[104:105], v[231:232]
	v_add_f64_e32 v[2:3], v[2:3], v[24:25]
	scratch_store_b64 off, v[50:51], off offset:40 ; 8-byte Folded Spill
	v_add_f64_e32 v[50:51], v[6:7], v[44:45]
	global_wb scope:SCOPE_SE
	s_wait_storecnt 0x0
	s_barrier_signal -1
	s_barrier_wait -1
	global_inv scope:SCOPE_SE
	v_add_f64_e32 v[2:3], v[2:3], v[26:27]
	v_fma_f64 v[215:216], v[50:51], s[14:15], -v[213:214]
	s_delay_alu instid0(VALU_DEP_2) | instskip(NEXT) | instid1(VALU_DEP_2)
	v_add_f64_e32 v[2:3], v[2:3], v[32:33]
	v_add_f64_e32 v[199:200], v[215:216], v[199:200]
	v_mul_f64_e32 v[215:216], s[26:27], v[211:212]
	s_delay_alu instid0(VALU_DEP_3) | instskip(NEXT) | instid1(VALU_DEP_2)
	v_add_f64_e32 v[2:3], v[2:3], v[34:35]
	v_fma_f64 v[217:218], v[50:51], s[24:25], -v[215:216]
	s_delay_alu instid0(VALU_DEP_2) | instskip(NEXT) | instid1(VALU_DEP_2)
	v_add_f64_e32 v[2:3], v[2:3], v[36:37]
	v_add_f64_e32 v[201:202], v[217:218], v[201:202]
	v_add_f64_e64 v[217:218], v[8:9], -v[34:35]
	s_delay_alu instid0(VALU_DEP_1) | instskip(NEXT) | instid1(VALU_DEP_1)
	v_mul_f64_e32 v[221:222], s[26:27], v[217:218]
	v_fma_f64 v[223:224], v[219:220], s[24:25], -v[221:222]
	s_delay_alu instid0(VALU_DEP_1) | instskip(SKIP_1) | instid1(VALU_DEP_1)
	v_add_f64_e32 v[199:200], v[223:224], v[199:200]
	v_mul_f64_e32 v[223:224], s[40:41], v[217:218]
	v_fma_f64 v[225:226], v[219:220], s[14:15], -v[223:224]
	s_delay_alu instid0(VALU_DEP_1) | instskip(SKIP_1) | instid1(VALU_DEP_1)
	v_add_f64_e32 v[201:202], v[225:226], v[201:202]
	v_add_f64_e64 v[225:226], v[10:11], -v[32:33]
	v_mul_f64_e32 v[229:230], s[38:39], v[225:226]
	s_delay_alu instid0(VALU_DEP_1) | instskip(NEXT) | instid1(VALU_DEP_1)
	v_fma_f64 v[231:232], v[227:228], s[20:21], -v[229:230]
	v_add_f64_e32 v[199:200], v[231:232], v[199:200]
	v_mul_f64_e32 v[231:232], s[34:35], v[225:226]
	s_delay_alu instid0(VALU_DEP_1) | instskip(NEXT) | instid1(VALU_DEP_1)
	v_fma_f64 v[233:234], v[227:228], s[6:7], -v[231:232]
	v_add_f64_e32 v[201:202], v[233:234], v[201:202]
	v_add_f64_e64 v[233:234], v[16:17], -v[26:27]
	s_delay_alu instid0(VALU_DEP_1) | instskip(NEXT) | instid1(VALU_DEP_1)
	v_mul_f64_e32 v[237:238], s[36:37], v[233:234]
	v_fma_f64 v[239:240], v[235:236], s[12:13], -v[237:238]
	s_delay_alu instid0(VALU_DEP_1) | instskip(SKIP_1) | instid1(VALU_DEP_1)
	v_add_f64_e32 v[199:200], v[239:240], v[199:200]
	v_mul_f64_e32 v[239:240], s[18:19], v[233:234]
	v_fma_f64 v[241:242], v[235:236], s[8:9], -v[239:240]
	s_delay_alu instid0(VALU_DEP_1) | instskip(SKIP_1) | instid1(VALU_DEP_1)
	v_add_f64_e32 v[201:202], v[241:242], v[201:202]
	v_add_f64_e64 v[241:242], v[20:21], -v[24:25]
	v_mul_f64_e32 v[245:246], s[34:35], v[241:242]
	v_mul_f64_e32 v[249:250], s[22:23], v[241:242]
	s_delay_alu instid0(VALU_DEP_2) | instskip(NEXT) | instid1(VALU_DEP_1)
	v_fma_f64 v[247:248], v[243:244], s[6:7], -v[245:246]
	v_add_f64_e32 v[247:248], v[247:248], v[199:200]
	s_delay_alu instid0(VALU_DEP_3) | instskip(NEXT) | instid1(VALU_DEP_1)
	v_fma_f64 v[199:200], v[243:244], s[20:21], -v[249:250]
	v_add_f64_e32 v[200:201], v[199:200], v[201:202]
	v_lshl_add_u32 v199, v94, 3, 0
	ds_store_2addr_b64 v199, v[247:248], v[200:201] offset0:4 offset1:6
	v_mul_f64_e32 v[200:201], s[38:39], v[211:212]
	s_delay_alu instid0(VALU_DEP_1) | instskip(NEXT) | instid1(VALU_DEP_1)
	v_fma_f64 v[247:248], v[50:51], s[20:21], -v[200:201]
	v_add_f64_e32 v[202:203], v[247:248], v[203:204]
	v_mul_f64_e32 v[247:248], s[36:37], v[211:212]
	s_delay_alu instid0(VALU_DEP_1) | instskip(NEXT) | instid1(VALU_DEP_1)
	v_fma_f64 v[251:252], v[50:51], s[12:13], -v[247:248]
	v_add_f64_e32 v[204:205], v[251:252], v[205:206]
	;; [unrolled: 4-line block ×6, first 2 shown]
	v_mul_f64_e32 v[98:99], s[44:45], v[233:234]
	s_delay_alu instid0(VALU_DEP_1) | instskip(SKIP_1) | instid1(VALU_DEP_2)
	v_fma_f64 v[100:101], v[235:236], s[24:25], -v[98:99]
	v_fma_f64 v[98:99], v[235:236], s[24:25], v[98:99]
	v_add_f64_e32 v[96:97], v[100:101], v[96:97]
	v_mul_f64_e32 v[100:101], s[34:35], v[233:234]
	s_delay_alu instid0(VALU_DEP_1) | instskip(NEXT) | instid1(VALU_DEP_1)
	v_fma_f64 v[102:103], v[235:236], s[6:7], -v[100:101]
	v_add_f64_e32 v[94:95], v[102:103], v[94:95]
	v_mul_f64_e32 v[102:103], s[42:43], v[241:242]
	s_delay_alu instid0(VALU_DEP_1) | instskip(NEXT) | instid1(VALU_DEP_1)
	v_fma_f64 v[191:192], v[243:244], s[8:9], -v[102:103]
	;; [unrolled: 4-line block ×3, first 2 shown]
	v_add_f64_e32 v[94:95], v[104:105], v[94:95]
	v_mul_f64_e32 v[104:105], s[22:23], v[217:218]
	ds_store_2addr_b64 v199, v[96:97], v[94:95] offset0:8 offset1:10
	v_mul_f64_e32 v[94:95], s[34:35], v[211:212]
	s_delay_alu instid0(VALU_DEP_1) | instskip(SKIP_1) | instid1(VALU_DEP_2)
	v_fma_f64 v[96:97], v[50:51], s[6:7], -v[94:95]
	v_fma_f64 v[94:95], v[50:51], s[6:7], v[94:95]
	v_add_f64_e32 v[96:97], v[96:97], v[207:208]
	s_delay_alu instid0(VALU_DEP_2) | instskip(SKIP_2) | instid1(VALU_DEP_2)
	v_add_f64_e32 v[94:95], v[94:95], v[209:210]
	v_fma_f64 v[206:207], v[219:220], s[20:21], -v[104:105]
	v_fma_f64 v[104:105], v[219:220], s[20:21], v[104:105]
	v_add_f64_e32 v[96:97], v[206:207], v[96:97]
	s_delay_alu instid0(VALU_DEP_2) | instskip(SKIP_1) | instid1(VALU_DEP_1)
	v_add_f64_e32 v[94:95], v[104:105], v[94:95]
	v_mul_f64_e32 v[104:105], s[42:43], v[225:226]
	v_fma_f64 v[206:207], v[227:228], s[8:9], -v[104:105]
	v_fma_f64 v[104:105], v[227:228], s[8:9], v[104:105]
	s_delay_alu instid0(VALU_DEP_2) | instskip(NEXT) | instid1(VALU_DEP_2)
	v_add_f64_e32 v[96:97], v[206:207], v[96:97]
	v_add_f64_e32 v[94:95], v[104:105], v[94:95]
	v_mul_f64_e32 v[104:105], s[16:17], v[233:234]
	s_delay_alu instid0(VALU_DEP_1) | instskip(SKIP_1) | instid1(VALU_DEP_2)
	v_fma_f64 v[206:207], v[235:236], s[14:15], -v[104:105]
	v_fma_f64 v[104:105], v[235:236], s[14:15], v[104:105]
	v_add_f64_e32 v[96:97], v[206:207], v[96:97]
	s_delay_alu instid0(VALU_DEP_2) | instskip(SKIP_1) | instid1(VALU_DEP_1)
	v_add_f64_e32 v[94:95], v[104:105], v[94:95]
	v_mul_f64_e32 v[104:105], s[36:37], v[241:242]
	v_fma_f64 v[206:207], v[243:244], s[12:13], -v[104:105]
	v_fma_f64 v[104:105], v[243:244], s[12:13], v[104:105]
	s_delay_alu instid0(VALU_DEP_2) | instskip(NEXT) | instid1(VALU_DEP_2)
	v_add_f64_e32 v[96:97], v[206:207], v[96:97]
	v_add_f64_e32 v[94:95], v[104:105], v[94:95]
	v_fma_f64 v[104:105], v[219:220], s[6:7], v[251:252]
	ds_store_2addr_b64 v199, v[96:97], v[94:95] offset0:12 offset1:14
	v_fma_f64 v[94:95], v[50:51], s[20:21], v[200:201]
	v_fma_f64 v[96:97], v[50:51], s[12:13], v[247:248]
	s_delay_alu instid0(VALU_DEP_2) | instskip(NEXT) | instid1(VALU_DEP_2)
	v_add_f64_e32 v[94:95], v[94:95], v[182:183]
	v_add_f64_e32 v[96:97], v[96:97], v[184:185]
	s_delay_alu instid0(VALU_DEP_2) | instskip(SKIP_1) | instid1(VALU_DEP_1)
	v_add_f64_e32 v[94:95], v[104:105], v[94:95]
	v_fma_f64 v[104:105], v[219:220], s[8:9], v[253:254]
	v_add_f64_e32 v[96:97], v[104:105], v[96:97]
	v_fma_f64 v[104:105], v[227:228], s[12:13], v[204:205]
	s_delay_alu instid0(VALU_DEP_1) | instskip(SKIP_3) | instid1(VALU_DEP_4)
	v_add_f64_e32 v[94:95], v[104:105], v[94:95]
	v_fma_f64 v[104:105], v[227:228], s[24:25], v[202:203]
	v_add_f64_e32 v[202:203], v[68:69], v[74:75]
	v_add_f64_e64 v[68:69], v[68:69], -v[74:75]
	v_add_f64_e32 v[94:95], v[98:99], v[94:95]
	s_delay_alu instid0(VALU_DEP_4) | instskip(SKIP_1) | instid1(VALU_DEP_1)
	v_add_f64_e32 v[96:97], v[104:105], v[96:97]
	v_fma_f64 v[98:99], v[235:236], s[6:7], v[100:101]
	v_add_f64_e32 v[96:97], v[98:99], v[96:97]
	v_fma_f64 v[98:99], v[243:244], s[8:9], v[102:103]
	s_delay_alu instid0(VALU_DEP_1) | instskip(SKIP_3) | instid1(VALU_DEP_3)
	v_add_f64_e32 v[94:95], v[98:99], v[94:95]
	v_fma_f64 v[98:99], v[243:244], s[14:15], v[191:192]
	v_add_f64_e32 v[191:192], v[66:67], v[78:79]
	v_add_f64_e64 v[66:67], v[66:67], -v[78:79]
	v_add_f64_e32 v[96:97], v[98:99], v[96:97]
	v_fma_f64 v[98:99], v[219:220], s[24:25], v[221:222]
	ds_store_2addr_b64 v199, v[96:97], v[94:95] offset0:16 offset1:18
	v_fma_f64 v[94:95], v[50:51], s[14:15], v[213:214]
	v_fma_f64 v[96:97], v[50:51], s[24:25], v[215:216]
	s_delay_alu instid0(VALU_DEP_2) | instskip(NEXT) | instid1(VALU_DEP_2)
	v_add_f64_e32 v[94:95], v[94:95], v[178:179]
	v_add_f64_e32 v[96:97], v[96:97], v[180:181]
	;; [unrolled: 1-line block ×3, first 2 shown]
	v_add_f64_e64 v[62:63], v[62:63], -v[82:83]
	s_delay_alu instid0(VALU_DEP_4) | instskip(SKIP_1) | instid1(VALU_DEP_1)
	v_add_f64_e32 v[94:95], v[98:99], v[94:95]
	v_fma_f64 v[98:99], v[219:220], s[14:15], v[223:224]
	v_add_f64_e32 v[96:97], v[98:99], v[96:97]
	v_fma_f64 v[98:99], v[227:228], s[20:21], v[229:230]
	s_delay_alu instid0(VALU_DEP_1) | instskip(SKIP_1) | instid1(VALU_DEP_1)
	v_add_f64_e32 v[94:95], v[98:99], v[94:95]
	v_fma_f64 v[98:99], v[227:228], s[6:7], v[231:232]
	v_add_f64_e32 v[96:97], v[98:99], v[96:97]
	v_fma_f64 v[98:99], v[235:236], s[12:13], v[237:238]
	s_delay_alu instid0(VALU_DEP_1) | instskip(SKIP_1) | instid1(VALU_DEP_1)
	;; [unrolled: 5-line block ×3, first 2 shown]
	v_add_f64_e32 v[94:95], v[98:99], v[94:95]
	v_fma_f64 v[98:99], v[243:244], s[20:21], v[249:250]
	v_add_f64_e32 v[96:97], v[98:99], v[96:97]
	v_mul_f64_e32 v[98:99], s[28:29], v[217:218]
	ds_store_2addr_b64 v199, v[96:97], v[94:95] offset0:20 offset1:22
	v_mul_f64_e32 v[94:95], s[18:19], v[211:212]
	v_fma_f64 v[100:101], v[219:220], s[12:13], -v[98:99]
	s_delay_alu instid0(VALU_DEP_2) | instskip(NEXT) | instid1(VALU_DEP_1)
	v_fma_f64 v[96:97], v[50:51], s[8:9], -v[94:95]
	v_add_f64_e32 v[96:97], v[96:97], v[174:175]
	s_delay_alu instid0(VALU_DEP_1) | instskip(SKIP_1) | instid1(VALU_DEP_1)
	v_add_f64_e32 v[96:97], v[100:101], v[96:97]
	v_mul_f64_e32 v[100:101], s[16:17], v[225:226]
	v_fma_f64 v[102:103], v[227:228], s[14:15], -v[100:101]
	s_delay_alu instid0(VALU_DEP_1) | instskip(SKIP_1) | instid1(VALU_DEP_1)
	v_add_f64_e32 v[96:97], v[102:103], v[96:97]
	v_mul_f64_e32 v[102:103], s[22:23], v[233:234]
	v_fma_f64 v[104:105], v[235:236], s[20:21], -v[102:103]
	;; [unrolled: 4-line block ×3, first 2 shown]
	s_delay_alu instid0(VALU_DEP_1) | instskip(SKIP_4) | instid1(VALU_DEP_4)
	v_add_f64_e32 v[96:97], v[174:175], v[96:97]
	v_add_f64_e32 v[174:175], v[176:177], v[6:7]
	v_add_f64_e32 v[176:177], v[58:59], v[88:89]
	v_add_f64_e64 v[58:59], v[58:59], -v[88:89]
	v_add_f64_e32 v[88:89], v[116:117], v[54:55]
	v_add_f64_e32 v[174:175], v[174:175], v[12:13]
	s_delay_alu instid0(VALU_DEP_2) | instskip(NEXT) | instid1(VALU_DEP_2)
	v_add_f64_e32 v[88:89], v[88:89], v[56:57]
	v_add_f64_e32 v[174:175], v[174:175], v[14:15]
	s_delay_alu instid0(VALU_DEP_2) | instskip(NEXT) | instid1(VALU_DEP_2)
	;; [unrolled: 3-line block ×9, first 2 shown]
	v_add_f64_e32 v[74:75], v[78:79], v[86:87]
	v_add_f64_e32 v[48:49], v[174:175], v[48:49]
	ds_store_2addr_b64 v199, v[48:49], v[96:97] offset1:2
	v_fma_f64 v[48:49], v[50:51], s[8:9], v[94:95]
	v_fma_f64 v[50:51], v[219:220], s[12:13], v[98:99]
	v_fma_f64 v[94:95], v[227:228], s[14:15], v[100:101]
	v_add_f64_e64 v[100:101], v[54:55], -v[86:87]
	v_fma_f64 v[96:97], v[235:236], s[20:21], v[102:103]
	v_fma_f64 v[98:99], v[243:244], s[24:25], v[104:105]
	v_add_f64_e32 v[102:103], v[52:53], v[92:93]
	v_add_f64_e64 v[52:53], v[52:53], -v[92:93]
	v_add_f64_e32 v[54:55], v[54:55], v[86:87]
	v_mul_f64_e32 v[86:87], s[26:27], v[58:59]
	v_add_f64_e32 v[48:49], v[48:49], v[166:167]
	v_mul_f64_e32 v[104:105], s[18:19], v[100:101]
	v_mul_f64_e32 v[92:93], s[18:19], v[52:53]
	s_delay_alu instid0(VALU_DEP_3) | instskip(SKIP_3) | instid1(VALU_DEP_4)
	v_add_f64_e32 v[48:49], v[50:51], v[48:49]
	v_add_f64_e64 v[50:51], v[56:57], -v[84:85]
	v_add_f64_e32 v[56:57], v[56:57], v[84:85]
	v_fma_f64 v[166:167], v[102:103], s[8:9], -v[104:105]
	v_add_f64_e32 v[48:49], v[94:95], v[48:49]
	s_delay_alu instid0(VALU_DEP_4) | instskip(SKIP_1) | instid1(VALU_DEP_4)
	v_mul_f64_e32 v[178:179], s[28:29], v[50:51]
	v_add_f64_e64 v[94:95], v[60:61], -v[80:81]
	v_add_f64_e32 v[166:167], v[166:167], v[172:173]
	v_add_f64_e32 v[60:61], v[60:61], v[80:81]
	v_mul_f64_e32 v[80:81], s[16:17], v[62:63]
	v_fma_f64 v[88:89], v[56:57], s[24:25], v[86:87]
	v_add_f64_e32 v[48:49], v[96:97], v[48:49]
	v_fma_f64 v[172:173], v[176:177], s[12:13], -v[178:179]
	v_mul_f64_e32 v[183:184], s[16:17], v[94:95]
	v_add_f64_e64 v[96:97], v[64:65], -v[76:77]
	v_add_f64_e32 v[64:65], v[64:65], v[76:77]
	v_fma_f64 v[82:83], v[60:61], s[14:15], v[80:81]
	v_mul_f64_e32 v[76:77], s[22:23], v[66:67]
	v_add_f64_e32 v[48:49], v[98:99], v[48:49]
	v_add_f64_e32 v[166:167], v[172:173], v[166:167]
	v_fma_f64 v[172:173], v[180:181], s[14:15], -v[183:184]
	v_mul_f64_e32 v[200:201], s[22:23], v[96:97]
	v_add_f64_e64 v[98:99], v[70:71], -v[72:73]
	v_add_f64_e32 v[70:71], v[70:71], v[72:73]
	v_fma_f64 v[78:79], v[64:65], s[20:21], v[76:77]
	v_add_f64_e32 v[72:73], v[74:75], v[90:91]
	v_mul_f64_e32 v[74:75], s[26:27], v[68:69]
	ds_store_b64 v199, v[48:49] offset:192
	v_lshrrev_b32_e32 v48, 1, v198
	v_add_f64_e32 v[166:167], v[172:173], v[166:167]
	v_fma_f64 v[172:173], v[191:192], s[20:21], -v[200:201]
	v_mul_f64_e32 v[204:205], s[26:27], v[98:99]
	s_delay_alu instid0(VALU_DEP_4) | instskip(NEXT) | instid1(VALU_DEP_1)
	v_mul_u32_u24_e32 v48, 26, v48
	v_or_b32_e32 v48, v48, v197
	v_subrev_nc_u32_e32 v197, 26, v190
	s_delay_alu instid0(VALU_DEP_2) | instskip(SKIP_2) | instid1(VALU_DEP_1)
	v_lshl_add_u32 v182, v48, 3, 0
	v_add_f64_e32 v[166:167], v[172:173], v[166:167]
	v_fma_f64 v[172:173], v[202:203], s[24:25], -v[204:205]
	v_add_f64_e32 v[166:167], v[172:173], v[166:167]
	ds_store_2addr_b64 v182, v[46:47], v[166:167] offset1:2
	v_mul_f64_e32 v[46:47], s[16:17], v[100:101]
	s_delay_alu instid0(VALU_DEP_1) | instskip(SKIP_1) | instid1(VALU_DEP_2)
	v_fma_f64 v[48:49], v[102:103], s[14:15], -v[46:47]
	v_fma_f64 v[46:47], v[102:103], s[14:15], v[46:47]
	v_add_f64_e32 v[48:49], v[48:49], v[162:163]
	v_mul_f64_e32 v[162:163], s[26:27], v[100:101]
	s_delay_alu instid0(VALU_DEP_3) | instskip(SKIP_1) | instid1(VALU_DEP_3)
	v_add_f64_e32 v[46:47], v[46:47], v[144:145]
	v_add_f64_e32 v[144:145], v[16:17], v[26:27]
	v_fma_f64 v[164:165], v[102:103], s[24:25], -v[162:163]
	s_delay_alu instid0(VALU_DEP_1) | instskip(SKIP_1) | instid1(VALU_DEP_1)
	v_add_f64_e32 v[160:161], v[164:165], v[160:161]
	v_mul_f64_e32 v[164:165], s[26:27], v[50:51]
	v_fma_f64 v[166:167], v[176:177], s[24:25], -v[164:165]
	s_delay_alu instid0(VALU_DEP_1) | instskip(SKIP_1) | instid1(VALU_DEP_1)
	v_add_f64_e32 v[48:49], v[166:167], v[48:49]
	v_mul_f64_e32 v[166:167], s[40:41], v[50:51]
	v_fma_f64 v[172:173], v[176:177], s[14:15], -v[166:167]
	s_delay_alu instid0(VALU_DEP_1) | instskip(SKIP_1) | instid1(VALU_DEP_1)
	v_add_f64_e32 v[160:161], v[172:173], v[160:161]
	v_mul_f64_e32 v[172:173], s[38:39], v[94:95]
	v_fma_f64 v[174:175], v[180:181], s[20:21], -v[172:173]
	s_delay_alu instid0(VALU_DEP_1) | instskip(SKIP_1) | instid1(VALU_DEP_1)
	v_add_f64_e32 v[48:49], v[174:175], v[48:49]
	v_mul_f64_e32 v[174:175], s[34:35], v[94:95]
	v_fma_f64 v[206:207], v[180:181], s[6:7], -v[174:175]
	s_delay_alu instid0(VALU_DEP_1) | instskip(SKIP_1) | instid1(VALU_DEP_1)
	v_add_f64_e32 v[160:161], v[206:207], v[160:161]
	v_mul_f64_e32 v[206:207], s[36:37], v[96:97]
	v_fma_f64 v[208:209], v[191:192], s[12:13], -v[206:207]
	s_delay_alu instid0(VALU_DEP_1) | instskip(SKIP_1) | instid1(VALU_DEP_1)
	v_add_f64_e32 v[48:49], v[208:209], v[48:49]
	v_mul_f64_e32 v[208:209], s[18:19], v[96:97]
	v_fma_f64 v[210:211], v[191:192], s[8:9], -v[208:209]
	s_delay_alu instid0(VALU_DEP_1) | instskip(SKIP_1) | instid1(VALU_DEP_1)
	v_add_f64_e32 v[160:161], v[210:211], v[160:161]
	v_mul_f64_e32 v[210:211], s[34:35], v[98:99]
	v_fma_f64 v[212:213], v[202:203], s[6:7], -v[210:211]
	s_delay_alu instid0(VALU_DEP_1) | instskip(SKIP_1) | instid1(VALU_DEP_1)
	v_add_f64_e32 v[48:49], v[212:213], v[48:49]
	v_mul_f64_e32 v[212:213], s[22:23], v[98:99]
	v_fma_f64 v[214:215], v[202:203], s[20:21], -v[212:213]
	s_delay_alu instid0(VALU_DEP_1) | instskip(SKIP_2) | instid1(VALU_DEP_1)
	v_add_f64_e32 v[160:161], v[214:215], v[160:161]
	ds_store_2addr_b64 v182, v[48:49], v[160:161] offset0:4 offset1:6
	v_mul_f64_e32 v[48:49], s[38:39], v[100:101]
	v_fma_f64 v[160:161], v[102:103], s[20:21], -v[48:49]
	v_fma_f64 v[48:49], v[102:103], s[20:21], v[48:49]
	s_delay_alu instid0(VALU_DEP_2) | instskip(SKIP_2) | instid1(VALU_DEP_4)
	v_add_f64_e32 v[158:159], v[160:161], v[158:159]
	v_mul_f64_e32 v[160:161], s[36:37], v[100:101]
	v_mul_f64_e32 v[100:101], s[34:35], v[100:101]
	v_add_f64_e32 v[48:49], v[48:49], v[148:149]
	s_delay_alu instid0(VALU_DEP_3) | instskip(NEXT) | instid1(VALU_DEP_1)
	v_fma_f64 v[214:215], v[102:103], s[12:13], -v[160:161]
	v_add_f64_e32 v[156:157], v[214:215], v[156:157]
	v_mul_f64_e32 v[214:215], s[34:35], v[50:51]
	s_delay_alu instid0(VALU_DEP_1) | instskip(NEXT) | instid1(VALU_DEP_1)
	v_fma_f64 v[216:217], v[176:177], s[6:7], -v[214:215]
	v_add_f64_e32 v[158:159], v[216:217], v[158:159]
	v_mul_f64_e32 v[216:217], s[18:19], v[50:51]
	v_mul_f64_e32 v[50:51], s[22:23], v[50:51]
	s_delay_alu instid0(VALU_DEP_2) | instskip(NEXT) | instid1(VALU_DEP_1)
	v_fma_f64 v[218:219], v[176:177], s[8:9], -v[216:217]
	v_add_f64_e32 v[156:157], v[218:219], v[156:157]
	v_mul_f64_e32 v[218:219], s[28:29], v[94:95]
	s_delay_alu instid0(VALU_DEP_1) | instskip(NEXT) | instid1(VALU_DEP_1)
	v_fma_f64 v[220:221], v[180:181], s[12:13], -v[218:219]
	v_add_f64_e32 v[158:159], v[220:221], v[158:159]
	v_mul_f64_e32 v[220:221], s[44:45], v[94:95]
	v_mul_f64_e32 v[94:95], s[42:43], v[94:95]
	s_delay_alu instid0(VALU_DEP_2) | instskip(NEXT) | instid1(VALU_DEP_1)
	v_fma_f64 v[222:223], v[180:181], s[24:25], -v[220:221]
	v_add_f64_e32 v[156:157], v[222:223], v[156:157]
	v_mul_f64_e32 v[222:223], s[44:45], v[96:97]
	s_delay_alu instid0(VALU_DEP_1) | instskip(NEXT) | instid1(VALU_DEP_1)
	v_fma_f64 v[224:225], v[191:192], s[24:25], -v[222:223]
	v_add_f64_e32 v[158:159], v[224:225], v[158:159]
	v_mul_f64_e32 v[224:225], s[34:35], v[96:97]
	s_delay_alu instid0(VALU_DEP_1) | instskip(NEXT) | instid1(VALU_DEP_1)
	;; [unrolled: 4-line block ×4, first 2 shown]
	v_fma_f64 v[230:231], v[202:203], s[14:15], -v[228:229]
	v_add_f64_e32 v[156:157], v[230:231], v[156:157]
	ds_store_2addr_b64 v182, v[158:159], v[156:157] offset0:8 offset1:10
	v_fma_f64 v[156:157], v[102:103], s[6:7], -v[100:101]
	v_fma_f64 v[100:101], v[102:103], s[6:7], v[100:101]
	s_delay_alu instid0(VALU_DEP_2) | instskip(NEXT) | instid1(VALU_DEP_2)
	v_add_f64_e32 v[154:155], v[156:157], v[154:155]
	v_add_f64_e32 v[100:101], v[100:101], v[152:153]
	v_fma_f64 v[152:153], v[176:177], s[20:21], -v[50:51]
	v_fma_f64 v[50:51], v[176:177], s[20:21], v[50:51]
	s_delay_alu instid0(VALU_DEP_2) | instskip(NEXT) | instid1(VALU_DEP_2)
	v_add_f64_e32 v[152:153], v[152:153], v[154:155]
	v_add_f64_e32 v[50:51], v[50:51], v[100:101]
	v_fma_f64 v[100:101], v[180:181], s[8:9], -v[94:95]
	v_fma_f64 v[94:95], v[180:181], s[8:9], v[94:95]
	v_add_f64_e32 v[154:155], v[10:11], v[32:33]
	s_delay_alu instid0(VALU_DEP_3) | instskip(NEXT) | instid1(VALU_DEP_3)
	v_add_f64_e32 v[100:101], v[100:101], v[152:153]
	v_add_f64_e32 v[50:51], v[94:95], v[50:51]
	v_mul_f64_e32 v[94:95], s[16:17], v[96:97]
	s_delay_alu instid0(VALU_DEP_1) | instskip(SKIP_1) | instid1(VALU_DEP_2)
	v_fma_f64 v[96:97], v[191:192], s[14:15], -v[94:95]
	v_fma_f64 v[94:95], v[191:192], s[14:15], v[94:95]
	v_add_f64_e32 v[96:97], v[96:97], v[100:101]
	s_delay_alu instid0(VALU_DEP_2) | instskip(SKIP_1) | instid1(VALU_DEP_1)
	v_add_f64_e32 v[50:51], v[94:95], v[50:51]
	v_mul_f64_e32 v[94:95], s[36:37], v[98:99]
	v_fma_f64 v[98:99], v[202:203], s[12:13], -v[94:95]
	v_fma_f64 v[94:95], v[202:203], s[12:13], v[94:95]
	s_delay_alu instid0(VALU_DEP_2) | instskip(NEXT) | instid1(VALU_DEP_2)
	v_add_f64_e32 v[96:97], v[98:99], v[96:97]
	v_add_f64_e32 v[50:51], v[94:95], v[50:51]
	v_fma_f64 v[94:95], v[176:177], s[6:7], v[214:215]
	ds_store_2addr_b64 v182, v[96:97], v[50:51] offset0:12 offset1:14
	v_fma_f64 v[50:51], v[102:103], s[12:13], v[160:161]
	v_add_f64_e32 v[48:49], v[94:95], v[48:49]
	v_fma_f64 v[94:95], v[176:177], s[8:9], v[216:217]
	v_add_f64_e32 v[96:97], v[2:3], v[40:41]
	s_delay_alu instid0(VALU_DEP_4) | instskip(SKIP_1) | instid1(VALU_DEP_2)
	v_add_f64_e32 v[50:51], v[50:51], v[150:151]
	v_add_f64_e32 v[150:151], v[8:9], v[34:35]
	;; [unrolled: 1-line block ×3, first 2 shown]
	v_fma_f64 v[94:95], v[180:181], s[12:13], v[218:219]
	s_delay_alu instid0(VALU_DEP_1) | instskip(SKIP_1) | instid1(VALU_DEP_1)
	v_add_f64_e32 v[48:49], v[94:95], v[48:49]
	v_fma_f64 v[94:95], v[180:181], s[24:25], v[220:221]
	v_add_f64_e32 v[50:51], v[94:95], v[50:51]
	v_fma_f64 v[94:95], v[191:192], s[24:25], v[222:223]
	s_delay_alu instid0(VALU_DEP_1) | instskip(SKIP_1) | instid1(VALU_DEP_1)
	v_add_f64_e32 v[48:49], v[94:95], v[48:49]
	v_fma_f64 v[94:95], v[191:192], s[6:7], v[224:225]
	v_add_f64_e32 v[50:51], v[94:95], v[50:51]
	;; [unrolled: 5-line block ×3, first 2 shown]
	ds_store_2addr_b64 v182, v[50:51], v[48:49] offset0:16 offset1:18
	v_fma_f64 v[48:49], v[102:103], s[24:25], v[162:163]
	v_fma_f64 v[50:51], v[176:177], s[24:25], v[164:165]
	v_add_f64_e64 v[162:163], v[22:23], -v[28:29]
	v_add_f64_e64 v[164:165], v[18:19], -v[30:31]
	v_fma_f64 v[18:19], v[202:203], s[24:25], v[204:205]
	v_add_f64_e32 v[48:49], v[48:49], v[146:147]
	v_add_f64_e32 v[46:47], v[50:51], v[46:47]
	v_fma_f64 v[50:51], v[176:177], s[14:15], v[166:167]
	v_add_f64_e32 v[146:147], v[4:5], v[36:37]
	v_add_f64_e64 v[166:167], v[14:15], -v[38:39]
	v_mul_f64_e32 v[158:159], s[22:23], v[164:165]
	v_fma_f64 v[14:15], v[191:192], s[20:21], v[200:201]
	v_mul_f64_e32 v[160:161], s[26:27], v[162:163]
	v_add_f64_e32 v[48:49], v[50:51], v[48:49]
	v_fma_f64 v[50:51], v[180:181], s[20:21], v[172:173]
	v_add_f64_e64 v[172:173], v[12:13], -v[42:43]
	v_mul_f64_e32 v[156:157], s[16:17], v[166:167]
	v_fma_f64 v[12:13], v[180:181], s[14:15], v[183:184]
	s_delay_alu instid0(VALU_DEP_4)
	v_add_f64_e32 v[46:47], v[50:51], v[46:47]
	v_fma_f64 v[50:51], v[180:181], s[6:7], v[174:175]
	v_add_f64_e64 v[174:175], v[6:7], -v[44:45]
	v_fma_f64 v[6:7], v[176:177], s[12:13], v[178:179]
	v_mul_f64_e32 v[152:153], s[28:29], v[172:173]
	v_mul_f64_e32 v[178:179], s[40:41], v[172:173]
	;; [unrolled: 1-line block ×3, first 2 shown]
	v_add_f64_e32 v[48:49], v[50:51], v[48:49]
	v_fma_f64 v[50:51], v[191:192], s[12:13], v[206:207]
	v_mul_f64_e32 v[148:149], s[18:19], v[174:175]
	v_mul_f64_e32 v[176:177], s[16:17], v[174:175]
	s_delay_alu instid0(VALU_DEP_3) | instskip(SKIP_1) | instid1(VALU_DEP_4)
	v_add_f64_e32 v[46:47], v[50:51], v[46:47]
	v_fma_f64 v[50:51], v[191:192], s[8:9], v[208:209]
	v_fma_f64 v[4:5], v[146:147], s[8:9], v[148:149]
	s_delay_alu instid0(VALU_DEP_2) | instskip(SKIP_1) | instid1(VALU_DEP_3)
	v_add_f64_e32 v[48:49], v[50:51], v[48:49]
	v_fma_f64 v[50:51], v[202:203], s[6:7], v[210:211]
	v_add_f64_e32 v[0:1], v[4:5], v[0:1]
	s_delay_alu instid0(VALU_DEP_2) | instskip(SKIP_1) | instid1(VALU_DEP_1)
	v_add_f64_e32 v[46:47], v[50:51], v[46:47]
	v_fma_f64 v[50:51], v[202:203], s[20:21], v[212:213]
	v_add_f64_e32 v[48:49], v[50:51], v[48:49]
	ds_store_2addr_b64 v182, v[48:49], v[46:47] offset0:20 offset1:22
	v_fma_f64 v[46:47], v[102:103], s[8:9], v[104:105]
	s_delay_alu instid0(VALU_DEP_1) | instskip(SKIP_1) | instid1(VALU_DEP_2)
	v_add_f64_e32 v[22:23], v[46:47], v[142:143]
	v_add_f64_e32 v[142:143], v[20:21], v[24:25]
	;; [unrolled: 1-line block ×3, first 2 shown]
	v_fma_f64 v[6:7], v[150:151], s[12:13], v[152:153]
	s_delay_alu instid0(VALU_DEP_2) | instskip(NEXT) | instid1(VALU_DEP_2)
	v_add_f64_e32 v[4:5], v[12:13], v[4:5]
	v_add_f64_e32 v[0:1], v[6:7], v[0:1]
	v_fma_f64 v[6:7], v[154:155], s[14:15], v[156:157]
	s_delay_alu instid0(VALU_DEP_3) | instskip(NEXT) | instid1(VALU_DEP_2)
	v_add_f64_e32 v[4:5], v[14:15], v[4:5]
	v_add_f64_e32 v[0:1], v[6:7], v[0:1]
	v_fma_f64 v[6:7], v[144:145], s[20:21], v[158:159]
	s_delay_alu instid0(VALU_DEP_3) | instskip(NEXT) | instid1(VALU_DEP_2)
	v_add_f64_e32 v[4:5], v[18:19], v[4:5]
	v_add_f64_e32 v[0:1], v[6:7], v[0:1]
	v_fma_f64 v[6:7], v[142:143], s[24:25], v[160:161]
	ds_store_b64 v182, v[4:5] offset:192
	global_wb scope:SCOPE_SE
	s_wait_dscnt 0x0
	s_barrier_signal -1
	s_barrier_wait -1
	v_add_f64_e32 v[94:95], v[6:7], v[0:1]
	global_inv scope:SCOPE_SE
	ds_load_2addr_b64 v[0:3], v189 offset1:52
	ds_load_2addr_b64 v[48:51], v189 offset0:104 offset1:156
	ds_load_2addr_b64 v[44:47], v188 offset0:80 offset1:132
	;; [unrolled: 1-line block ×12, first 2 shown]
	global_wb scope:SCOPE_SE
	s_wait_dscnt 0x0
	s_barrier_signal -1
	s_barrier_wait -1
	global_inv scope:SCOPE_SE
	ds_store_2addr_b64 v199, v[96:97], v[94:95] offset1:2
	v_fma_f64 v[94:95], v[146:147], s[14:15], v[176:177]
	s_delay_alu instid0(VALU_DEP_1) | instskip(SKIP_1) | instid1(VALU_DEP_1)
	v_add_f64_e32 v[94:95], v[94:95], v[140:141]
	v_mul_f64_e32 v[140:141], s[26:27], v[174:175]
	v_fma_f64 v[96:97], v[146:147], s[24:25], v[140:141]
	s_delay_alu instid0(VALU_DEP_1) | instskip(SKIP_1) | instid1(VALU_DEP_1)
	v_add_f64_e32 v[96:97], v[96:97], v[138:139]
	v_mul_f64_e32 v[138:139], s[26:27], v[172:173]
	v_fma_f64 v[98:99], v[150:151], s[24:25], v[138:139]
	s_delay_alu instid0(VALU_DEP_1) | instskip(SKIP_1) | instid1(VALU_DEP_1)
	v_add_f64_e32 v[94:95], v[98:99], v[94:95]
	v_fma_f64 v[98:99], v[150:151], s[14:15], v[178:179]
	v_add_f64_e32 v[96:97], v[98:99], v[96:97]
	v_fma_f64 v[98:99], v[154:155], s[20:21], v[180:181]
	s_delay_alu instid0(VALU_DEP_1) | instskip(SKIP_1) | instid1(VALU_DEP_1)
	v_add_f64_e32 v[94:95], v[98:99], v[94:95]
	v_mul_f64_e32 v[98:99], s[34:35], v[166:167]
	v_fma_f64 v[100:101], v[154:155], s[6:7], v[98:99]
	v_fma_f64 v[98:99], v[154:155], s[6:7], -v[98:99]
	s_delay_alu instid0(VALU_DEP_2) | instskip(SKIP_1) | instid1(VALU_DEP_1)
	v_add_f64_e32 v[96:97], v[100:101], v[96:97]
	v_mul_f64_e32 v[100:101], s[36:37], v[164:165]
	v_fma_f64 v[102:103], v[144:145], s[12:13], v[100:101]
	s_delay_alu instid0(VALU_DEP_1) | instskip(SKIP_1) | instid1(VALU_DEP_1)
	v_add_f64_e32 v[94:95], v[102:103], v[94:95]
	v_mul_f64_e32 v[102:103], s[18:19], v[164:165]
	v_fma_f64 v[104:105], v[144:145], s[8:9], v[102:103]
	s_delay_alu instid0(VALU_DEP_1) | instskip(SKIP_1) | instid1(VALU_DEP_1)
	;; [unrolled: 4-line block ×3, first 2 shown]
	v_add_f64_e32 v[94:95], v[183:184], v[94:95]
	v_mul_f64_e32 v[183:184], s[22:23], v[162:163]
	v_fma_f64 v[191:192], v[142:143], s[20:21], v[183:184]
	s_delay_alu instid0(VALU_DEP_1) | instskip(SKIP_2) | instid1(VALU_DEP_1)
	v_add_f64_e32 v[96:97], v[191:192], v[96:97]
	ds_store_2addr_b64 v199, v[94:95], v[96:97] offset0:4 offset1:6
	v_mul_f64_e32 v[94:95], s[38:39], v[174:175]
	v_fma_f64 v[96:97], v[146:147], s[20:21], v[94:95]
	v_fma_f64 v[94:95], v[146:147], s[20:21], -v[94:95]
	s_delay_alu instid0(VALU_DEP_2) | instskip(SKIP_1) | instid1(VALU_DEP_3)
	v_add_f64_e32 v[96:97], v[96:97], v[136:137]
	v_mul_f64_e32 v[136:137], s[36:37], v[174:175]
	v_add_f64_e32 v[94:95], v[94:95], v[126:127]
	s_delay_alu instid0(VALU_DEP_2) | instskip(NEXT) | instid1(VALU_DEP_1)
	v_fma_f64 v[191:192], v[146:147], s[12:13], v[136:137]
	v_add_f64_e32 v[134:135], v[191:192], v[134:135]
	v_mul_f64_e32 v[191:192], s[34:35], v[172:173]
	s_delay_alu instid0(VALU_DEP_1) | instskip(SKIP_1) | instid1(VALU_DEP_2)
	v_fma_f64 v[200:201], v[150:151], s[6:7], v[191:192]
	v_fma_f64 v[126:127], v[150:151], s[6:7], -v[191:192]
	v_add_f64_e32 v[96:97], v[200:201], v[96:97]
	v_mul_f64_e32 v[200:201], s[18:19], v[172:173]
	s_delay_alu instid0(VALU_DEP_3) | instskip(NEXT) | instid1(VALU_DEP_2)
	v_add_f64_e32 v[94:95], v[126:127], v[94:95]
	v_fma_f64 v[202:203], v[150:151], s[8:9], v[200:201]
	v_fma_f64 v[126:127], v[150:151], s[8:9], -v[200:201]
	s_delay_alu instid0(VALU_DEP_2) | instskip(SKIP_1) | instid1(VALU_DEP_1)
	v_add_f64_e32 v[134:135], v[202:203], v[134:135]
	v_mul_f64_e32 v[202:203], s[28:29], v[166:167]
	v_fma_f64 v[204:205], v[154:155], s[12:13], v[202:203]
	s_delay_alu instid0(VALU_DEP_1) | instskip(SKIP_1) | instid1(VALU_DEP_1)
	v_add_f64_e32 v[96:97], v[204:205], v[96:97]
	v_mul_f64_e32 v[204:205], s[44:45], v[166:167]
	v_fma_f64 v[206:207], v[154:155], s[24:25], v[204:205]
	s_delay_alu instid0(VALU_DEP_1) | instskip(SKIP_1) | instid1(VALU_DEP_1)
	;; [unrolled: 4-line block ×5, first 2 shown]
	v_add_f64_e32 v[96:97], v[212:213], v[96:97]
	v_mul_f64_e32 v[212:213], s[16:17], v[162:163]
	v_fma_f64 v[214:215], v[142:143], s[14:15], v[212:213]
	s_delay_alu instid0(VALU_DEP_1) | instskip(SKIP_2) | instid1(VALU_DEP_1)
	v_add_f64_e32 v[134:135], v[214:215], v[134:135]
	ds_store_2addr_b64 v199, v[96:97], v[134:135] offset0:8 offset1:10
	v_mul_f64_e32 v[96:97], s[34:35], v[174:175]
	v_fma_f64 v[134:135], v[146:147], s[6:7], v[96:97]
	v_fma_f64 v[96:97], v[146:147], s[6:7], -v[96:97]
	s_delay_alu instid0(VALU_DEP_2) | instskip(NEXT) | instid1(VALU_DEP_2)
	v_add_f64_e32 v[132:133], v[134:135], v[132:133]
	v_add_f64_e32 v[96:97], v[96:97], v[130:131]
	v_mul_f64_e32 v[130:131], s[22:23], v[172:173]
	s_delay_alu instid0(VALU_DEP_1) | instskip(SKIP_1) | instid1(VALU_DEP_2)
	v_fma_f64 v[134:135], v[150:151], s[20:21], v[130:131]
	v_fma_f64 v[130:131], v[150:151], s[20:21], -v[130:131]
	v_add_f64_e32 v[132:133], v[134:135], v[132:133]
	s_delay_alu instid0(VALU_DEP_2) | instskip(SKIP_1) | instid1(VALU_DEP_1)
	v_add_f64_e32 v[96:97], v[130:131], v[96:97]
	v_mul_f64_e32 v[130:131], s[42:43], v[166:167]
	v_fma_f64 v[134:135], v[154:155], s[8:9], v[130:131]
	v_fma_f64 v[130:131], v[154:155], s[8:9], -v[130:131]
	s_delay_alu instid0(VALU_DEP_2) | instskip(NEXT) | instid1(VALU_DEP_2)
	v_add_f64_e32 v[132:133], v[134:135], v[132:133]
	v_add_f64_e32 v[96:97], v[130:131], v[96:97]
	v_mul_f64_e32 v[130:131], s[16:17], v[164:165]
	s_delay_alu instid0(VALU_DEP_1) | instskip(SKIP_1) | instid1(VALU_DEP_2)
	v_fma_f64 v[134:135], v[144:145], s[14:15], v[130:131]
	v_fma_f64 v[130:131], v[144:145], s[14:15], -v[130:131]
	v_add_f64_e32 v[132:133], v[134:135], v[132:133]
	s_delay_alu instid0(VALU_DEP_2) | instskip(SKIP_1) | instid1(VALU_DEP_1)
	v_add_f64_e32 v[96:97], v[130:131], v[96:97]
	v_mul_f64_e32 v[130:131], s[36:37], v[162:163]
	v_fma_f64 v[134:135], v[142:143], s[12:13], v[130:131]
	v_fma_f64 v[130:131], v[142:143], s[12:13], -v[130:131]
	s_delay_alu instid0(VALU_DEP_2) | instskip(NEXT) | instid1(VALU_DEP_2)
	v_add_f64_e32 v[132:133], v[134:135], v[132:133]
	v_add_f64_e32 v[96:97], v[130:131], v[96:97]
	ds_store_2addr_b64 v199, v[132:133], v[96:97] offset0:12 offset1:14
	v_fma_f64 v[96:97], v[146:147], s[12:13], -v[136:137]
	s_delay_alu instid0(VALU_DEP_1) | instskip(NEXT) | instid1(VALU_DEP_1)
	v_add_f64_e32 v[96:97], v[96:97], v[128:129]
	v_add_f64_e32 v[96:97], v[126:127], v[96:97]
	v_fma_f64 v[126:127], v[154:155], s[12:13], -v[202:203]
	s_delay_alu instid0(VALU_DEP_1) | instskip(SKIP_1) | instid1(VALU_DEP_1)
	v_add_f64_e32 v[94:95], v[126:127], v[94:95]
	v_fma_f64 v[126:127], v[154:155], s[24:25], -v[204:205]
	v_add_f64_e32 v[96:97], v[126:127], v[96:97]
	v_fma_f64 v[126:127], v[144:145], s[24:25], -v[206:207]
	s_delay_alu instid0(VALU_DEP_1) | instskip(SKIP_1) | instid1(VALU_DEP_1)
	v_add_f64_e32 v[94:95], v[126:127], v[94:95]
	v_fma_f64 v[126:127], v[144:145], s[6:7], -v[208:209]
	;; [unrolled: 5-line block ×3, first 2 shown]
	v_add_f64_e32 v[96:97], v[126:127], v[96:97]
	ds_store_2addr_b64 v199, v[96:97], v[94:95] offset0:16 offset1:18
	v_fma_f64 v[94:95], v[146:147], s[14:15], -v[176:177]
	v_fma_f64 v[96:97], v[146:147], s[24:25], -v[140:141]
	s_delay_alu instid0(VALU_DEP_2) | instskip(SKIP_1) | instid1(VALU_DEP_3)
	v_add_f64_e32 v[94:95], v[94:95], v[122:123]
	v_fma_f64 v[122:123], v[150:151], s[24:25], -v[138:139]
	v_add_f64_e32 v[96:97], v[96:97], v[124:125]
	s_delay_alu instid0(VALU_DEP_2) | instskip(SKIP_1) | instid1(VALU_DEP_1)
	v_add_f64_e32 v[94:95], v[122:123], v[94:95]
	v_fma_f64 v[122:123], v[150:151], s[14:15], -v[178:179]
	v_add_f64_e32 v[96:97], v[122:123], v[96:97]
	v_fma_f64 v[122:123], v[154:155], s[20:21], -v[180:181]
	s_delay_alu instid0(VALU_DEP_2) | instskip(NEXT) | instid1(VALU_DEP_2)
	v_add_f64_e32 v[96:97], v[98:99], v[96:97]
	v_add_f64_e32 v[94:95], v[122:123], v[94:95]
	v_fma_f64 v[98:99], v[144:145], s[12:13], -v[100:101]
	s_delay_alu instid0(VALU_DEP_1) | instskip(SKIP_1) | instid1(VALU_DEP_1)
	v_add_f64_e32 v[94:95], v[98:99], v[94:95]
	v_fma_f64 v[98:99], v[144:145], s[8:9], -v[102:103]
	v_add_f64_e32 v[96:97], v[98:99], v[96:97]
	v_fma_f64 v[98:99], v[142:143], s[6:7], -v[104:105]
	s_delay_alu instid0(VALU_DEP_1) | instskip(SKIP_1) | instid1(VALU_DEP_1)
	v_add_f64_e32 v[94:95], v[98:99], v[94:95]
	v_fma_f64 v[98:99], v[142:143], s[20:21], -v[183:184]
	v_add_f64_e32 v[96:97], v[98:99], v[96:97]
	v_fma_f64 v[98:99], v[154:155], s[14:15], -v[156:157]
	ds_store_2addr_b64 v199, v[96:97], v[94:95] offset0:20 offset1:22
	v_fma_f64 v[94:95], v[146:147], s[8:9], -v[148:149]
	v_fma_f64 v[96:97], v[150:151], s[12:13], -v[152:153]
	v_cndmask_b32_e64 v148, v197, v190, s0
	s_delay_alu instid0(VALU_DEP_3) | instskip(NEXT) | instid1(VALU_DEP_1)
	v_add_f64_e32 v[94:95], v[94:95], v[120:121]
	v_add_f64_e32 v[94:95], v[96:97], v[94:95]
	v_fma_f64 v[96:97], v[144:145], s[20:21], -v[158:159]
	s_delay_alu instid0(VALU_DEP_2) | instskip(NEXT) | instid1(VALU_DEP_1)
	v_add_f64_e32 v[94:95], v[98:99], v[94:95]
	v_add_f64_e32 v[94:95], v[96:97], v[94:95]
	v_fma_f64 v[96:97], v[142:143], s[24:25], -v[160:161]
	s_delay_alu instid0(VALU_DEP_1) | instskip(SKIP_4) | instid1(VALU_DEP_2)
	v_add_f64_e32 v[94:95], v[96:97], v[94:95]
	v_mul_f64_e32 v[96:97], s[28:29], v[58:59]
	ds_store_b64 v199, v[94:95] offset:192
	v_fma_f64 v[94:95], v[54:55], s[8:9], v[92:93]
	v_fma_f64 v[98:99], v[56:57], s[12:13], v[96:97]
	v_add_f64_e32 v[94:95], v[94:95], v[118:119]
	s_delay_alu instid0(VALU_DEP_1) | instskip(NEXT) | instid1(VALU_DEP_1)
	v_add_f64_e32 v[94:95], v[98:99], v[94:95]
	v_add_f64_e32 v[82:83], v[82:83], v[94:95]
	s_delay_alu instid0(VALU_DEP_1) | instskip(SKIP_1) | instid1(VALU_DEP_1)
	v_add_f64_e32 v[78:79], v[78:79], v[82:83]
	v_fma_f64 v[82:83], v[70:71], s[24:25], v[74:75]
	v_add_f64_e32 v[78:79], v[82:83], v[78:79]
	v_mul_f64_e32 v[82:83], s[26:27], v[52:53]
	ds_store_2addr_b64 v182, v[72:73], v[78:79] offset1:2
	v_mul_f64_e32 v[72:73], s[16:17], v[52:53]
	v_fma_f64 v[84:85], v[54:55], s[24:25], v[82:83]
	s_delay_alu instid0(VALU_DEP_2) | instskip(NEXT) | instid1(VALU_DEP_2)
	v_fma_f64 v[78:79], v[54:55], s[14:15], v[72:73]
	v_add_f64_e32 v[84:85], v[84:85], v[112:113]
	s_delay_alu instid0(VALU_DEP_2) | instskip(NEXT) | instid1(VALU_DEP_1)
	v_add_f64_e32 v[78:79], v[78:79], v[114:115]
	v_add_f64_e32 v[78:79], v[88:89], v[78:79]
	v_mul_f64_e32 v[88:89], s[40:41], v[58:59]
	s_delay_alu instid0(VALU_DEP_1) | instskip(NEXT) | instid1(VALU_DEP_1)
	v_fma_f64 v[90:91], v[56:57], s[14:15], v[88:89]
	v_add_f64_e32 v[84:85], v[90:91], v[84:85]
	v_mul_f64_e32 v[90:91], s[38:39], v[62:63]
	s_delay_alu instid0(VALU_DEP_1) | instskip(NEXT) | instid1(VALU_DEP_1)
	v_fma_f64 v[94:95], v[60:61], s[20:21], v[90:91]
	v_add_f64_e32 v[78:79], v[94:95], v[78:79]
	v_mul_f64_e32 v[94:95], s[34:35], v[62:63]
	s_delay_alu instid0(VALU_DEP_1) | instskip(NEXT) | instid1(VALU_DEP_1)
	v_fma_f64 v[98:99], v[60:61], s[6:7], v[94:95]
	v_add_f64_e32 v[84:85], v[98:99], v[84:85]
	v_mul_f64_e32 v[98:99], s[36:37], v[66:67]
	s_delay_alu instid0(VALU_DEP_1) | instskip(NEXT) | instid1(VALU_DEP_1)
	v_fma_f64 v[100:101], v[64:65], s[12:13], v[98:99]
	v_add_f64_e32 v[78:79], v[100:101], v[78:79]
	v_mul_f64_e32 v[100:101], s[18:19], v[66:67]
	s_delay_alu instid0(VALU_DEP_1) | instskip(NEXT) | instid1(VALU_DEP_1)
	v_fma_f64 v[102:103], v[64:65], s[8:9], v[100:101]
	v_add_f64_e32 v[84:85], v[102:103], v[84:85]
	v_mul_f64_e32 v[102:103], s[34:35], v[68:69]
	s_delay_alu instid0(VALU_DEP_1) | instskip(NEXT) | instid1(VALU_DEP_1)
	v_fma_f64 v[104:105], v[70:71], s[6:7], v[102:103]
	v_add_f64_e32 v[78:79], v[104:105], v[78:79]
	v_mul_f64_e32 v[104:105], s[22:23], v[68:69]
	s_delay_alu instid0(VALU_DEP_1) | instskip(NEXT) | instid1(VALU_DEP_1)
	v_fma_f64 v[112:113], v[70:71], s[20:21], v[104:105]
	v_add_f64_e32 v[84:85], v[112:113], v[84:85]
	ds_store_2addr_b64 v182, v[78:79], v[84:85] offset0:4 offset1:6
	v_mul_f64_e32 v[78:79], s[38:39], v[52:53]
	s_delay_alu instid0(VALU_DEP_1) | instskip(NEXT) | instid1(VALU_DEP_1)
	v_fma_f64 v[84:85], v[54:55], s[20:21], v[78:79]
	v_add_f64_e32 v[84:85], v[84:85], v[110:111]
	v_mul_f64_e32 v[110:111], s[36:37], v[52:53]
	v_mul_f64_e32 v[52:53], s[34:35], v[52:53]
	s_delay_alu instid0(VALU_DEP_2) | instskip(NEXT) | instid1(VALU_DEP_1)
	v_fma_f64 v[112:113], v[54:55], s[12:13], v[110:111]
	v_add_f64_e32 v[108:109], v[112:113], v[108:109]
	v_mul_f64_e32 v[112:113], s[34:35], v[58:59]
	s_delay_alu instid0(VALU_DEP_1) | instskip(NEXT) | instid1(VALU_DEP_1)
	v_fma_f64 v[114:115], v[56:57], s[6:7], v[112:113]
	v_add_f64_e32 v[84:85], v[114:115], v[84:85]
	v_mul_f64_e32 v[114:115], s[18:19], v[58:59]
	v_mul_f64_e32 v[58:59], s[22:23], v[58:59]
	s_delay_alu instid0(VALU_DEP_2) | instskip(NEXT) | instid1(VALU_DEP_1)
	v_fma_f64 v[116:117], v[56:57], s[8:9], v[114:115]
	v_add_f64_e32 v[108:109], v[116:117], v[108:109]
	v_mul_f64_e32 v[116:117], s[28:29], v[62:63]
	s_delay_alu instid0(VALU_DEP_1) | instskip(NEXT) | instid1(VALU_DEP_1)
	v_fma_f64 v[118:119], v[60:61], s[12:13], v[116:117]
	v_add_f64_e32 v[84:85], v[118:119], v[84:85]
	v_mul_f64_e32 v[118:119], s[44:45], v[62:63]
	s_delay_alu instid0(VALU_DEP_1) | instskip(NEXT) | instid1(VALU_DEP_1)
	;; [unrolled: 4-line block ×6, first 2 shown]
	v_fma_f64 v[128:129], v[70:71], s[14:15], v[126:127]
	v_add_f64_e32 v[108:109], v[128:129], v[108:109]
	ds_store_2addr_b64 v182, v[84:85], v[108:109] offset0:8 offset1:10
	v_fma_f64 v[84:85], v[54:55], s[6:7], v[52:53]
	v_fma_f64 v[52:53], v[54:55], s[6:7], -v[52:53]
	s_delay_alu instid0(VALU_DEP_2)
	v_add_f64_e32 v[84:85], v[84:85], v[106:107]
	scratch_load_b64 v[106:107], off, off offset:40 th:TH_LOAD_LU ; 8-byte Folded Reload
	s_wait_loadcnt 0x0
	v_add_f64_e32 v[52:53], v[52:53], v[106:107]
	v_fma_f64 v[106:107], v[56:57], s[20:21], v[58:59]
	v_fma_f64 v[58:59], v[56:57], s[20:21], -v[58:59]
	s_delay_alu instid0(VALU_DEP_2) | instskip(NEXT) | instid1(VALU_DEP_2)
	v_add_f64_e32 v[84:85], v[106:107], v[84:85]
	v_add_f64_e32 v[52:53], v[58:59], v[52:53]
	v_mul_f64_e32 v[58:59], s[42:43], v[62:63]
	s_delay_alu instid0(VALU_DEP_1) | instskip(SKIP_1) | instid1(VALU_DEP_2)
	v_fma_f64 v[62:63], v[60:61], s[8:9], v[58:59]
	v_fma_f64 v[58:59], v[60:61], s[8:9], -v[58:59]
	v_add_f64_e32 v[62:63], v[62:63], v[84:85]
	s_delay_alu instid0(VALU_DEP_2) | instskip(SKIP_1) | instid1(VALU_DEP_1)
	v_add_f64_e32 v[52:53], v[58:59], v[52:53]
	v_mul_f64_e32 v[58:59], s[16:17], v[66:67]
	v_fma_f64 v[66:67], v[64:65], s[14:15], v[58:59]
	v_fma_f64 v[58:59], v[64:65], s[14:15], -v[58:59]
	s_delay_alu instid0(VALU_DEP_2) | instskip(NEXT) | instid1(VALU_DEP_2)
	v_add_f64_e32 v[62:63], v[66:67], v[62:63]
	v_add_f64_e32 v[52:53], v[58:59], v[52:53]
	v_mul_f64_e32 v[58:59], s[36:37], v[68:69]
	s_delay_alu instid0(VALU_DEP_1) | instskip(SKIP_1) | instid1(VALU_DEP_2)
	v_fma_f64 v[66:67], v[70:71], s[12:13], v[58:59]
	v_fma_f64 v[58:59], v[70:71], s[12:13], -v[58:59]
	v_add_f64_e32 v[62:63], v[66:67], v[62:63]
	s_delay_alu instid0(VALU_DEP_2)
	v_add_f64_e32 v[52:53], v[58:59], v[52:53]
	scratch_load_b64 v[58:59], off, off offset:24 th:TH_LOAD_LU ; 8-byte Folded Reload
	ds_store_2addr_b64 v182, v[62:63], v[52:53] offset0:12 offset1:14
	scratch_load_b64 v[62:63], off, off offset:32 th:TH_LOAD_LU ; 8-byte Folded Reload
	v_fma_f64 v[52:53], v[54:55], s[20:21], -v[78:79]
	s_wait_loadcnt 0x1
	s_delay_alu instid0(VALU_DEP_1) | instskip(SKIP_2) | instid1(VALU_DEP_1)
	v_add_f64_e32 v[52:53], v[52:53], v[58:59]
	v_fma_f64 v[58:59], v[54:55], s[12:13], -v[110:111]
	s_wait_loadcnt 0x0
	v_add_f64_e32 v[58:59], v[58:59], v[62:63]
	v_fma_f64 v[62:63], v[56:57], s[6:7], -v[112:113]
	s_delay_alu instid0(VALU_DEP_1) | instskip(SKIP_1) | instid1(VALU_DEP_1)
	v_add_f64_e32 v[52:53], v[62:63], v[52:53]
	v_fma_f64 v[62:63], v[56:57], s[8:9], -v[114:115]
	v_add_f64_e32 v[58:59], v[62:63], v[58:59]
	v_fma_f64 v[62:63], v[60:61], s[12:13], -v[116:117]
	s_delay_alu instid0(VALU_DEP_1) | instskip(SKIP_1) | instid1(VALU_DEP_1)
	v_add_f64_e32 v[52:53], v[62:63], v[52:53]
	v_fma_f64 v[62:63], v[60:61], s[24:25], -v[118:119]
	;; [unrolled: 5-line block ×4, first 2 shown]
	v_add_f64_e32 v[58:59], v[62:63], v[58:59]
	scratch_load_b64 v[62:63], off, off offset:16 th:TH_LOAD_LU ; 8-byte Folded Reload
	ds_store_2addr_b64 v182, v[58:59], v[52:53] offset0:16 offset1:18
	scratch_load_b64 v[58:59], off, off offset:8 th:TH_LOAD_LU ; 8-byte Folded Reload
	v_fma_f64 v[52:53], v[54:55], s[14:15], -v[72:73]
	s_wait_loadcnt 0x0
	s_delay_alu instid0(VALU_DEP_1) | instskip(SKIP_1) | instid1(VALU_DEP_1)
	v_add_f64_e32 v[52:53], v[52:53], v[58:59]
	v_fma_f64 v[58:59], v[54:55], s[24:25], -v[82:83]
	v_add_f64_e32 v[58:59], v[58:59], v[62:63]
	v_fma_f64 v[62:63], v[56:57], s[24:25], -v[86:87]
	s_delay_alu instid0(VALU_DEP_1) | instskip(SKIP_1) | instid1(VALU_DEP_1)
	v_add_f64_e32 v[52:53], v[62:63], v[52:53]
	v_fma_f64 v[62:63], v[56:57], s[14:15], -v[88:89]
	v_add_f64_e32 v[58:59], v[62:63], v[58:59]
	v_fma_f64 v[62:63], v[60:61], s[20:21], -v[90:91]
	;; [unrolled: 5-line block ×4, first 2 shown]
	s_delay_alu instid0(VALU_DEP_1) | instskip(SKIP_1) | instid1(VALU_DEP_1)
	v_add_f64_e32 v[52:53], v[62:63], v[52:53]
	v_fma_f64 v[62:63], v[70:71], s[20:21], -v[104:105]
	v_add_f64_e32 v[58:59], v[62:63], v[58:59]
	ds_store_2addr_b64 v182, v[58:59], v[52:53] offset0:20 offset1:22
	v_fma_f64 v[52:53], v[54:55], s[8:9], -v[92:93]
	scratch_load_b64 v[54:55], off, off th:TH_LOAD_LU ; 8-byte Folded Reload
	s_wait_loadcnt 0x0
	v_add_f64_e32 v[52:53], v[52:53], v[54:55]
	v_fma_f64 v[54:55], v[56:57], s[12:13], -v[96:97]
	s_delay_alu instid0(VALU_DEP_1) | instskip(SKIP_1) | instid1(VALU_DEP_1)
	v_add_f64_e32 v[52:53], v[54:55], v[52:53]
	v_fma_f64 v[54:55], v[60:61], s[14:15], -v[80:81]
	v_add_f64_e32 v[52:53], v[54:55], v[52:53]
	v_fma_f64 v[54:55], v[64:65], s[20:21], -v[76:77]
	s_delay_alu instid0(VALU_DEP_1) | instskip(SKIP_1) | instid1(VALU_DEP_1)
	v_add_f64_e32 v[52:53], v[54:55], v[52:53]
	v_fma_f64 v[54:55], v[70:71], s[24:25], -v[74:75]
	v_add_f64_e32 v[52:53], v[54:55], v[52:53]
	ds_store_b64 v182, v[52:53] offset:192
	v_mul_i32_i24_e32 v52, 12, v148
	v_mov_b32_e32 v53, 0
	global_wb scope:SCOPE_SE
	s_wait_dscnt 0x0
	s_barrier_signal -1
	s_barrier_wait -1
	global_inv scope:SCOPE_SE
	v_lshlrev_b64_e32 v[52:53], 4, v[52:53]
	ds_load_2addr_b64 v[56:59], v189 offset0:104 offset1:156
	v_add_co_u32 v68, s1, s4, v52
	s_wait_alu 0xf1ff
	v_add_co_ci_u32_e64 v69, s1, s5, v53, s1
	v_cmp_lt_u32_e64 s1, 25, v190
	s_clause 0x1
	global_load_b128 v[52:55], v[68:69], off offset:384
	global_load_b128 v[60:63], v[68:69], off offset:400
	s_wait_loadcnt_dscnt 0x100
	v_mul_f64_e32 v[64:65], v[56:57], v[54:55]
	s_delay_alu instid0(VALU_DEP_1) | instskip(SKIP_1) | instid1(VALU_DEP_1)
	v_fma_f64 v[136:137], v[48:49], v[52:53], -v[64:65]
	v_mul_f64_e32 v[48:49], v[48:49], v[54:55]
	v_fma_f64 v[106:107], v[56:57], v[52:53], v[48:49]
	v_and_b32_e32 v48, 0xff, v198
	s_delay_alu instid0(VALU_DEP_1) | instskip(NEXT) | instid1(VALU_DEP_1)
	v_mul_lo_u16 v48, 0x4f, v48
	v_lshrrev_b16 v149, 11, v48
	s_delay_alu instid0(VALU_DEP_1) | instskip(NEXT) | instid1(VALU_DEP_1)
	v_mul_lo_u16 v48, v149, 26
	v_sub_nc_u16 v48, v198, v48
	s_delay_alu instid0(VALU_DEP_1) | instskip(NEXT) | instid1(VALU_DEP_1)
	v_and_b32_e32 v150, 0xff, v48
	v_mul_u32_u24_e32 v48, 12, v150
	s_delay_alu instid0(VALU_DEP_1)
	v_lshlrev_b32_e32 v120, 4, v48
	s_clause 0x1
	global_load_b128 v[52:55], v120, s[4:5] offset:384
	global_load_b128 v[64:67], v120, s[4:5] offset:400
	s_wait_loadcnt 0x1
	v_mul_f64_e32 v[48:49], v[58:59], v[54:55]
	s_delay_alu instid0(VALU_DEP_1) | instskip(SKIP_1) | instid1(VALU_DEP_1)
	v_fma_f64 v[114:115], v[50:51], v[52:53], -v[48:49]
	v_mul_f64_e32 v[48:49], v[50:51], v[54:55]
	v_fma_f64 v[112:113], v[58:59], v[52:53], v[48:49]
	ds_load_2addr_b64 v[48:51], v188 offset0:80 offset1:132
	global_load_b128 v[56:59], v[68:69], off offset:432
	s_wait_dscnt 0x0
	v_mul_f64_e32 v[52:53], v[48:49], v[62:63]
	s_delay_alu instid0(VALU_DEP_1) | instskip(SKIP_1) | instid1(VALU_DEP_1)
	v_fma_f64 v[132:133], v[44:45], v[60:61], -v[52:53]
	v_mul_f64_e32 v[44:45], v[44:45], v[62:63]
	v_fma_f64 v[86:87], v[48:49], v[60:61], v[44:45]
	s_wait_loadcnt 0x1
	v_mul_f64_e32 v[44:45], v[50:51], v[66:67]
	s_delay_alu instid0(VALU_DEP_1) | instskip(SKIP_1) | instid1(VALU_DEP_1)
	v_fma_f64 v[70:71], v[46:47], v[64:65], -v[44:45]
	v_mul_f64_e32 v[44:45], v[46:47], v[66:67]
	v_fma_f64 v[60:61], v[50:51], v[64:65], v[44:45]
	global_load_b128 v[44:47], v[68:69], off offset:416
	ds_load_2addr_b64 v[48:51], v196 offset0:56 offset1:108
	s_wait_loadcnt_dscnt 0x0
	v_mul_f64_e32 v[52:53], v[48:49], v[46:47]
	s_delay_alu instid0(VALU_DEP_1) | instskip(SKIP_1) | instid1(VALU_DEP_1)
	v_fma_f64 v[128:129], v[40:41], v[44:45], -v[52:53]
	v_mul_f64_e32 v[40:41], v[40:41], v[46:47]
	v_fma_f64 v[74:75], v[48:49], v[44:45], v[40:41]
	s_clause 0x1
	global_load_b128 v[44:47], v120, s[4:5] offset:416
	global_load_b128 v[62:65], v120, s[4:5] offset:432
	s_wait_loadcnt 0x1
	v_mul_f64_e32 v[40:41], v[50:51], v[46:47]
	s_delay_alu instid0(VALU_DEP_1) | instskip(SKIP_1) | instid1(VALU_DEP_1)
	v_fma_f64 v[84:85], v[42:43], v[44:45], -v[40:41]
	v_mul_f64_e32 v[40:41], v[42:43], v[46:47]
	v_fma_f64 v[54:55], v[50:51], v[44:45], v[40:41]
	ds_load_2addr_b64 v[40:43], v196 offset0:160 offset1:212
	s_wait_dscnt 0x0
	v_mul_f64_e32 v[44:45], v[40:41], v[58:59]
	s_delay_alu instid0(VALU_DEP_1)
	v_fma_f64 v[126:127], v[36:37], v[56:57], -v[44:45]
	v_mul_f64_e32 v[36:37], v[36:37], v[58:59]
	global_load_b128 v[44:47], v[68:69], off offset:464
	v_fma_f64 v[80:81], v[40:41], v[56:57], v[36:37]
	s_wait_loadcnt 0x1
	v_mul_f64_e32 v[36:37], v[42:43], v[64:65]
	s_delay_alu instid0(VALU_DEP_1) | instskip(SKIP_1) | instid1(VALU_DEP_1)
	v_fma_f64 v[88:89], v[38:39], v[62:63], -v[36:37]
	v_mul_f64_e32 v[36:37], v[38:39], v[64:65]
	v_fma_f64 v[52:53], v[42:43], v[62:63], v[36:37]
	global_load_b128 v[36:39], v[68:69], off offset:448
	ds_load_2addr_b64 v[40:43], v193 offset0:8 offset1:60
	s_wait_loadcnt_dscnt 0x0
	v_mul_f64_e32 v[48:49], v[40:41], v[38:39]
	s_delay_alu instid0(VALU_DEP_1) | instskip(SKIP_1) | instid1(VALU_DEP_1)
	v_fma_f64 v[130:131], v[32:33], v[36:37], -v[48:49]
	v_mul_f64_e32 v[32:33], v[32:33], v[38:39]
	v_fma_f64 v[98:99], v[40:41], v[36:37], v[32:33]
	s_clause 0x1
	global_load_b128 v[36:39], v120, s[4:5] offset:448
	global_load_b128 v[48:51], v120, s[4:5] offset:464
	s_wait_loadcnt 0x1
	v_mul_f64_e32 v[32:33], v[42:43], v[38:39]
	s_delay_alu instid0(VALU_DEP_1) | instskip(SKIP_1) | instid1(VALU_DEP_1)
	v_fma_f64 v[102:103], v[34:35], v[36:37], -v[32:33]
	v_mul_f64_e32 v[32:33], v[34:35], v[38:39]
	v_fma_f64 v[56:57], v[42:43], v[36:37], v[32:33]
	ds_load_2addr_b64 v[32:35], v193 offset0:112 offset1:164
	s_wait_dscnt 0x0
	v_mul_f64_e32 v[36:37], v[32:33], v[46:47]
	s_delay_alu instid0(VALU_DEP_1) | instskip(SKIP_1) | instid1(VALU_DEP_1)
	v_fma_f64 v[124:125], v[28:29], v[44:45], -v[36:37]
	v_mul_f64_e32 v[28:29], v[28:29], v[46:47]
	v_fma_f64 v[100:101], v[32:33], v[44:45], v[28:29]
	s_wait_loadcnt 0x0
	v_mul_f64_e32 v[28:29], v[34:35], v[50:51]
	s_delay_alu instid0(VALU_DEP_1) | instskip(SKIP_1) | instid1(VALU_DEP_1)
	v_fma_f64 v[104:105], v[30:31], v[48:49], -v[28:29]
	v_mul_f64_e32 v[28:29], v[30:31], v[50:51]
	v_fma_f64 v[82:83], v[34:35], v[48:49], v[28:29]
	ds_load_2addr_b64 v[28:31], v187 offset0:88 offset1:140
	s_clause 0x1
	global_load_b128 v[32:35], v[68:69], off offset:480
	global_load_b128 v[36:39], v[68:69], off offset:496
	s_wait_loadcnt_dscnt 0x100
	v_mul_f64_e32 v[40:41], v[28:29], v[34:35]
	s_delay_alu instid0(VALU_DEP_1) | instskip(SKIP_1) | instid1(VALU_DEP_2)
	v_fma_f64 v[134:135], v[24:25], v[32:33], -v[40:41]
	v_mul_f64_e32 v[24:25], v[24:25], v[34:35]
	v_add_f64_e32 v[155:156], v[124:125], v[134:135]
	s_delay_alu instid0(VALU_DEP_2) | instskip(SKIP_4) | instid1(VALU_DEP_1)
	v_fma_f64 v[90:91], v[28:29], v[32:33], v[24:25]
	s_clause 0x1
	global_load_b128 v[32:35], v120, s[4:5] offset:480
	global_load_b128 v[40:43], v120, s[4:5] offset:496
	v_add_f64_e64 v[153:154], v[100:101], -v[90:91]
	v_mul_f64_e32 v[151:152], s[34:35], v[153:154]
	v_mul_f64_e32 v[157:158], s[22:23], v[153:154]
	s_wait_loadcnt 0x1
	v_mul_f64_e32 v[24:25], v[30:31], v[34:35]
	s_delay_alu instid0(VALU_DEP_1) | instskip(SKIP_1) | instid1(VALU_DEP_1)
	v_fma_f64 v[108:109], v[26:27], v[32:33], -v[24:25]
	v_mul_f64_e32 v[24:25], v[26:27], v[34:35]
	v_fma_f64 v[92:93], v[30:31], v[32:33], v[24:25]
	ds_load_2addr_b64 v[24:27], v195 offset0:64 offset1:116
	s_wait_dscnt 0x0
	v_mul_f64_e32 v[28:29], v[24:25], v[38:39]
	s_delay_alu instid0(VALU_DEP_1)
	v_fma_f64 v[138:139], v[20:21], v[36:37], -v[28:29]
	v_mul_f64_e32 v[20:21], v[20:21], v[38:39]
	global_load_b128 v[28:31], v[68:69], off offset:528
	v_fma_f64 v[94:95], v[24:25], v[36:37], v[20:21]
	s_wait_loadcnt 0x1
	v_mul_f64_e32 v[20:21], v[26:27], v[42:43]
	s_delay_alu instid0(VALU_DEP_1) | instskip(SKIP_2) | instid1(VALU_DEP_2)
	v_fma_f64 v[110:111], v[22:23], v[40:41], -v[20:21]
	v_mul_f64_e32 v[20:21], v[22:23], v[42:43]
	v_add_f64_e32 v[42:43], v[130:131], v[138:139]
	v_fma_f64 v[72:73], v[26:27], v[40:41], v[20:21]
	global_load_b128 v[20:23], v[68:69], off offset:512
	ds_load_2addr_b64 v[24:27], v195 offset0:168 offset1:220
	s_wait_loadcnt_dscnt 0x0
	v_mul_f64_e32 v[32:33], v[24:25], v[22:23]
	s_delay_alu instid0(VALU_DEP_1) | instskip(SKIP_1) | instid1(VALU_DEP_1)
	v_fma_f64 v[140:141], v[16:17], v[20:21], -v[32:33]
	v_mul_f64_e32 v[16:17], v[16:17], v[22:23]
	v_fma_f64 v[96:97], v[24:25], v[20:21], v[16:17]
	s_clause 0x1
	global_load_b128 v[20:23], v120, s[4:5] offset:512
	global_load_b128 v[32:35], v120, s[4:5] offset:528
	s_wait_loadcnt 0x1
	v_mul_f64_e32 v[16:17], v[26:27], v[22:23]
	s_delay_alu instid0(VALU_DEP_1) | instskip(SKIP_1) | instid1(VALU_DEP_1)
	v_fma_f64 v[116:117], v[18:19], v[20:21], -v[16:17]
	v_mul_f64_e32 v[16:17], v[18:19], v[22:23]
	v_fma_f64 v[76:77], v[26:27], v[20:21], v[16:17]
	ds_load_2addr_b64 v[16:19], v194 offset0:16 offset1:68
	s_wait_dscnt 0x0
	v_mul_f64_e32 v[20:21], v[16:17], v[30:31]
	s_delay_alu instid0(VALU_DEP_1) | instskip(SKIP_1) | instid1(VALU_DEP_1)
	v_fma_f64 v[142:143], v[12:13], v[28:29], -v[20:21]
	v_mul_f64_e32 v[12:13], v[12:13], v[30:31]
	v_fma_f64 v[78:79], v[16:17], v[28:29], v[12:13]
	s_wait_loadcnt 0x0
	v_mul_f64_e32 v[12:13], v[18:19], v[34:35]
	s_delay_alu instid0(VALU_DEP_1) | instskip(SKIP_2) | instid1(VALU_DEP_2)
	v_fma_f64 v[118:119], v[14:15], v[32:33], -v[12:13]
	v_mul_f64_e32 v[12:13], v[14:15], v[34:35]
	v_add_f64_e32 v[34:35], v[126:127], v[140:141]
	v_fma_f64 v[62:63], v[18:19], v[32:33], v[12:13]
	s_clause 0x1
	global_load_b128 v[12:15], v[68:69], off offset:544
	global_load_b128 v[16:19], v[68:69], off offset:560
	ds_load_2addr_b64 v[20:23], v194 offset0:120 offset1:172
	s_wait_loadcnt_dscnt 0x100
	v_mul_f64_e32 v[24:25], v[20:21], v[14:15]
	s_delay_alu instid0(VALU_DEP_1) | instskip(SKIP_1) | instid1(VALU_DEP_1)
	v_fma_f64 v[144:145], v[8:9], v[12:13], -v[24:25]
	v_mul_f64_e32 v[8:9], v[8:9], v[14:15]
	v_fma_f64 v[68:69], v[20:21], v[12:13], v[8:9]
	s_clause 0x1
	global_load_b128 v[12:15], v120, s[4:5] offset:544
	global_load_b128 v[24:27], v120, s[4:5] offset:560
	s_wait_loadcnt 0x1
	v_mul_f64_e32 v[8:9], v[22:23], v[14:15]
	s_delay_alu instid0(VALU_DEP_1) | instskip(SKIP_2) | instid1(VALU_DEP_2)
	v_fma_f64 v[120:121], v[10:11], v[12:13], -v[8:9]
	v_mul_f64_e32 v[8:9], v[10:11], v[14:15]
	v_add_f64_e64 v[14:15], v[86:87], -v[68:69]
	v_fma_f64 v[66:67], v[22:23], v[12:13], v[8:9]
	ds_load_2addr_b64 v[8:11], v186 offset0:96 offset1:148
	v_mul_f64_e32 v[22:23], s[26:27], v[14:15]
	v_mul_f64_e32 v[159:160], s[38:39], v[14:15]
	;; [unrolled: 1-line block ×3, first 2 shown]
	s_wait_dscnt 0x0
	v_mul_f64_e32 v[12:13], v[8:9], v[18:19]
	s_delay_alu instid0(VALU_DEP_1) | instskip(SKIP_1) | instid1(VALU_DEP_1)
	v_fma_f64 v[146:147], v[4:5], v[16:17], -v[12:13]
	v_mul_f64_e32 v[4:5], v[4:5], v[18:19]
	v_fma_f64 v[58:59], v[8:9], v[16:17], v[4:5]
	s_wait_loadcnt 0x0
	v_mul_f64_e32 v[4:5], v[10:11], v[26:27]
	v_mul_f64_e32 v[16:17], s[16:17], v[14:15]
	s_delay_alu instid0(VALU_DEP_3) | instskip(NEXT) | instid1(VALU_DEP_3)
	v_add_f64_e64 v[8:9], v[106:107], -v[58:59]
	v_fma_f64 v[122:123], v[6:7], v[24:25], -v[4:5]
	v_mul_f64_e32 v[4:5], v[6:7], v[26:27]
	v_add_f64_e64 v[26:27], v[74:75], -v[78:79]
	s_delay_alu instid0(VALU_DEP_4) | instskip(SKIP_1) | instid1(VALU_DEP_4)
	v_mul_f64_e32 v[12:13], s[18:19], v[8:9]
	v_mul_f64_e32 v[20:21], s[28:29], v[8:9]
	v_fma_f64 v[64:65], v[10:11], v[24:25], v[4:5]
	v_add_f64_e32 v[4:5], v[136:137], v[146:147]
	v_mul_f64_e32 v[28:29], s[26:27], v[26:27]
	s_delay_alu instid0(VALU_DEP_2) | instskip(SKIP_1) | instid1(VALU_DEP_2)
	v_fma_f64 v[6:7], v[4:5], s[8:9], -v[12:13]
	v_fma_f64 v[12:13], v[4:5], s[8:9], v[12:13]
	v_add_f64_e32 v[10:11], v[0:1], v[6:7]
	v_add_f64_e32 v[6:7], v[132:133], v[144:145]
	s_delay_alu instid0(VALU_DEP_3) | instskip(NEXT) | instid1(VALU_DEP_2)
	v_add_f64_e32 v[12:13], v[0:1], v[12:13]
	v_fma_f64 v[18:19], v[6:7], s[14:15], -v[16:17]
	v_fma_f64 v[24:25], v[6:7], s[24:25], -v[22:23]
	v_fma_f64 v[161:162], v[6:7], s[20:21], -v[159:160]
	v_fma_f64 v[172:173], v[6:7], s[12:13], -v[165:166]
	v_fma_f64 v[16:17], v[6:7], s[14:15], v[16:17]
	v_add_f64_e32 v[18:19], v[18:19], v[10:11]
	v_fma_f64 v[10:11], v[4:5], s[12:13], -v[20:21]
	s_delay_alu instid0(VALU_DEP_3) | instskip(SKIP_1) | instid1(VALU_DEP_3)
	v_add_f64_e32 v[12:13], v[16:17], v[12:13]
	v_fma_f64 v[16:17], v[4:5], s[12:13], v[20:21]
	v_add_f64_e32 v[10:11], v[0:1], v[10:11]
	s_delay_alu instid0(VALU_DEP_2) | instskip(NEXT) | instid1(VALU_DEP_2)
	v_add_f64_e32 v[16:17], v[0:1], v[16:17]
	v_add_f64_e32 v[24:25], v[24:25], v[10:11]
	;; [unrolled: 1-line block ×3, first 2 shown]
	s_delay_alu instid0(VALU_DEP_1) | instskip(NEXT) | instid1(VALU_DEP_1)
	v_fma_f64 v[30:31], v[10:11], s[24:25], -v[28:29]
	v_add_f64_e32 v[18:19], v[30:31], v[18:19]
	v_mul_f64_e32 v[30:31], s[40:41], v[26:27]
	s_delay_alu instid0(VALU_DEP_1) | instskip(NEXT) | instid1(VALU_DEP_1)
	v_fma_f64 v[32:33], v[10:11], s[14:15], -v[30:31]
	v_add_f64_e32 v[24:25], v[32:33], v[24:25]
	v_add_f64_e64 v[32:33], v[80:81], -v[96:97]
	s_delay_alu instid0(VALU_DEP_1) | instskip(NEXT) | instid1(VALU_DEP_1)
	v_mul_f64_e32 v[36:37], s[38:39], v[32:33]
	v_fma_f64 v[38:39], v[34:35], s[20:21], -v[36:37]
	s_delay_alu instid0(VALU_DEP_1) | instskip(SKIP_1) | instid1(VALU_DEP_1)
	v_add_f64_e32 v[18:19], v[38:39], v[18:19]
	v_mul_f64_e32 v[38:39], s[34:35], v[32:33]
	v_fma_f64 v[40:41], v[34:35], s[6:7], -v[38:39]
	s_delay_alu instid0(VALU_DEP_1) | instskip(SKIP_1) | instid1(VALU_DEP_1)
	v_add_f64_e32 v[24:25], v[40:41], v[24:25]
	v_add_f64_e64 v[40:41], v[98:99], -v[94:95]
	v_mul_f64_e32 v[44:45], s[36:37], v[40:41]
	s_delay_alu instid0(VALU_DEP_1) | instskip(NEXT) | instid1(VALU_DEP_1)
	v_fma_f64 v[46:47], v[42:43], s[12:13], -v[44:45]
	v_add_f64_e32 v[18:19], v[46:47], v[18:19]
	v_mul_f64_e32 v[46:47], s[18:19], v[40:41]
	s_delay_alu instid0(VALU_DEP_1) | instskip(NEXT) | instid1(VALU_DEP_1)
	v_fma_f64 v[48:49], v[42:43], s[8:9], -v[46:47]
	v_add_f64_e32 v[24:25], v[48:49], v[24:25]
	v_fma_f64 v[48:49], v[155:156], s[6:7], -v[151:152]
	s_delay_alu instid0(VALU_DEP_1) | instskip(SKIP_1) | instid1(VALU_DEP_1)
	v_add_f64_e32 v[18:19], v[48:49], v[18:19]
	v_fma_f64 v[48:49], v[155:156], s[20:21], -v[157:158]
	v_add_f64_e32 v[24:25], v[48:49], v[24:25]
	v_lshlrev_b32_e32 v48, 3, v148
	s_wait_alu 0xf1ff
	v_cndmask_b32_e64 v49, 0, 0xa90, s1
	s_delay_alu instid0(VALU_DEP_1)
	v_add3_u32 v148, 0, v49, v48
	ds_load_2addr_b64 v[48:51], v189 offset1:52
	global_wb scope:SCOPE_SE
	s_wait_dscnt 0x0
	s_barrier_signal -1
	s_barrier_wait -1
	global_inv scope:SCOPE_SE
	ds_store_2addr_b64 v148, v[18:19], v[24:25] offset0:52 offset1:78
	v_mul_f64_e32 v[18:19], s[16:17], v[8:9]
	s_delay_alu instid0(VALU_DEP_1) | instskip(SKIP_1) | instid1(VALU_DEP_2)
	v_fma_f64 v[24:25], v[4:5], s[14:15], -v[18:19]
	v_fma_f64 v[18:19], v[4:5], s[14:15], v[18:19]
	v_add_f64_e32 v[24:25], v[0:1], v[24:25]
	s_delay_alu instid0(VALU_DEP_2) | instskip(NEXT) | instid1(VALU_DEP_2)
	v_add_f64_e32 v[18:19], v[0:1], v[18:19]
	v_add_f64_e32 v[24:25], v[161:162], v[24:25]
	v_mul_f64_e32 v[161:162], s[22:23], v[8:9]
	s_delay_alu instid0(VALU_DEP_1) | instskip(NEXT) | instid1(VALU_DEP_1)
	v_fma_f64 v[163:164], v[4:5], s[20:21], -v[161:162]
	v_add_f64_e32 v[163:164], v[0:1], v[163:164]
	s_delay_alu instid0(VALU_DEP_1) | instskip(SKIP_1) | instid1(VALU_DEP_1)
	v_add_f64_e32 v[163:164], v[172:173], v[163:164]
	v_mul_f64_e32 v[172:173], s[34:35], v[26:27]
	v_fma_f64 v[174:175], v[10:11], s[6:7], -v[172:173]
	s_delay_alu instid0(VALU_DEP_1) | instskip(SKIP_1) | instid1(VALU_DEP_1)
	v_add_f64_e32 v[24:25], v[174:175], v[24:25]
	v_mul_f64_e32 v[174:175], s[18:19], v[26:27]
	v_fma_f64 v[176:177], v[10:11], s[8:9], -v[174:175]
	s_delay_alu instid0(VALU_DEP_1) | instskip(SKIP_1) | instid1(VALU_DEP_1)
	v_add_f64_e32 v[163:164], v[176:177], v[163:164]
	v_mul_f64_e32 v[176:177], s[28:29], v[32:33]
	v_fma_f64 v[178:179], v[34:35], s[12:13], -v[176:177]
	s_delay_alu instid0(VALU_DEP_1) | instskip(SKIP_1) | instid1(VALU_DEP_1)
	v_add_f64_e32 v[24:25], v[178:179], v[24:25]
	v_mul_f64_e32 v[178:179], s[44:45], v[32:33]
	v_fma_f64 v[180:181], v[34:35], s[24:25], -v[178:179]
	s_delay_alu instid0(VALU_DEP_1) | instskip(SKIP_1) | instid1(VALU_DEP_1)
	v_add_f64_e32 v[163:164], v[180:181], v[163:164]
	v_mul_f64_e32 v[180:181], s[44:45], v[40:41]
	v_fma_f64 v[182:183], v[42:43], s[24:25], -v[180:181]
	s_delay_alu instid0(VALU_DEP_1) | instskip(SKIP_1) | instid1(VALU_DEP_1)
	v_add_f64_e32 v[24:25], v[182:183], v[24:25]
	v_mul_f64_e32 v[182:183], s[34:35], v[40:41]
	v_fma_f64 v[184:185], v[42:43], s[6:7], -v[182:183]
	s_delay_alu instid0(VALU_DEP_1) | instskip(SKIP_1) | instid1(VALU_DEP_1)
	v_add_f64_e32 v[163:164], v[184:185], v[163:164]
	v_mul_f64_e32 v[184:185], s[42:43], v[153:154]
	v_fma_f64 v[186:187], v[155:156], s[8:9], -v[184:185]
	s_delay_alu instid0(VALU_DEP_1) | instskip(SKIP_1) | instid1(VALU_DEP_1)
	v_add_f64_e32 v[24:25], v[186:187], v[24:25]
	v_mul_f64_e32 v[186:187], s[16:17], v[153:154]
	v_fma_f64 v[191:192], v[155:156], s[14:15], -v[186:187]
	s_delay_alu instid0(VALU_DEP_1)
	v_add_f64_e32 v[163:164], v[191:192], v[163:164]
	v_mul_f64_e32 v[191:192], s[34:35], v[14:15]
	ds_store_2addr_b64 v148, v[24:25], v[163:164] offset0:104 offset1:130
	v_mul_f64_e32 v[24:25], s[26:27], v[8:9]
	v_fma_f64 v[198:199], v[6:7], s[6:7], -v[191:192]
	v_fma_f64 v[191:192], v[6:7], s[6:7], v[191:192]
	v_mul_f64_e32 v[8:9], s[30:31], v[8:9]
	s_delay_alu instid0(VALU_DEP_4) | instskip(SKIP_1) | instid1(VALU_DEP_2)
	v_fma_f64 v[163:164], v[4:5], s[24:25], -v[24:25]
	v_fma_f64 v[24:25], v[4:5], s[24:25], v[24:25]
	v_add_f64_e32 v[163:164], v[0:1], v[163:164]
	s_delay_alu instid0(VALU_DEP_2) | instskip(NEXT) | instid1(VALU_DEP_2)
	v_add_f64_e32 v[24:25], v[0:1], v[24:25]
	v_add_f64_e32 v[163:164], v[198:199], v[163:164]
	s_delay_alu instid0(VALU_DEP_2) | instskip(SKIP_1) | instid1(VALU_DEP_1)
	v_add_f64_e32 v[24:25], v[191:192], v[24:25]
	v_mul_f64_e32 v[191:192], s[22:23], v[26:27]
	v_fma_f64 v[198:199], v[10:11], s[20:21], -v[191:192]
	v_fma_f64 v[191:192], v[10:11], s[20:21], v[191:192]
	s_delay_alu instid0(VALU_DEP_2) | instskip(NEXT) | instid1(VALU_DEP_2)
	v_add_f64_e32 v[163:164], v[198:199], v[163:164]
	v_add_f64_e32 v[24:25], v[191:192], v[24:25]
	v_mul_f64_e32 v[191:192], s[42:43], v[32:33]
	s_delay_alu instid0(VALU_DEP_1) | instskip(SKIP_1) | instid1(VALU_DEP_2)
	v_fma_f64 v[198:199], v[34:35], s[8:9], -v[191:192]
	v_fma_f64 v[191:192], v[34:35], s[8:9], v[191:192]
	v_add_f64_e32 v[163:164], v[198:199], v[163:164]
	s_delay_alu instid0(VALU_DEP_2) | instskip(SKIP_1) | instid1(VALU_DEP_1)
	v_add_f64_e32 v[24:25], v[191:192], v[24:25]
	v_mul_f64_e32 v[191:192], s[16:17], v[40:41]
	v_fma_f64 v[198:199], v[42:43], s[14:15], -v[191:192]
	v_fma_f64 v[191:192], v[42:43], s[14:15], v[191:192]
	s_delay_alu instid0(VALU_DEP_2) | instskip(NEXT) | instid1(VALU_DEP_2)
	v_add_f64_e32 v[163:164], v[198:199], v[163:164]
	v_add_f64_e32 v[24:25], v[191:192], v[24:25]
	v_mul_f64_e32 v[191:192], s[36:37], v[153:154]
	s_delay_alu instid0(VALU_DEP_1) | instskip(SKIP_1) | instid1(VALU_DEP_2)
	v_fma_f64 v[198:199], v[155:156], s[12:13], -v[191:192]
	v_fma_f64 v[191:192], v[155:156], s[12:13], v[191:192]
	v_add_f64_e32 v[163:164], v[198:199], v[163:164]
	s_delay_alu instid0(VALU_DEP_2) | instskip(SKIP_3) | instid1(VALU_DEP_2)
	v_add_f64_e32 v[24:25], v[191:192], v[24:25]
	ds_store_2addr_b64 v148, v[163:164], v[24:25] offset0:156 offset1:182
	v_fma_f64 v[24:25], v[6:7], s[20:21], v[159:160]
	v_fma_f64 v[159:160], v[6:7], s[12:13], v[165:166]
	v_add_f64_e32 v[18:19], v[24:25], v[18:19]
	v_fma_f64 v[24:25], v[4:5], s[20:21], v[161:162]
	s_delay_alu instid0(VALU_DEP_1) | instskip(NEXT) | instid1(VALU_DEP_1)
	v_add_f64_e32 v[24:25], v[0:1], v[24:25]
	v_add_f64_e32 v[24:25], v[159:160], v[24:25]
	v_fma_f64 v[159:160], v[10:11], s[6:7], v[172:173]
	s_delay_alu instid0(VALU_DEP_1) | instskip(SKIP_1) | instid1(VALU_DEP_1)
	v_add_f64_e32 v[18:19], v[159:160], v[18:19]
	v_fma_f64 v[159:160], v[10:11], s[8:9], v[174:175]
	v_add_f64_e32 v[24:25], v[159:160], v[24:25]
	v_fma_f64 v[159:160], v[34:35], s[12:13], v[176:177]
	s_delay_alu instid0(VALU_DEP_1) | instskip(SKIP_1) | instid1(VALU_DEP_1)
	v_add_f64_e32 v[18:19], v[159:160], v[18:19]
	v_fma_f64 v[159:160], v[34:35], s[24:25], v[178:179]
	;; [unrolled: 5-line block ×4, first 2 shown]
	v_add_f64_e32 v[24:25], v[159:160], v[24:25]
	ds_store_2addr_b64 v148, v[24:25], v[18:19] offset0:208 offset1:234
	v_fma_f64 v[18:19], v[6:7], s[24:25], v[22:23]
	s_delay_alu instid0(VALU_DEP_1) | instskip(SKIP_1) | instid1(VALU_DEP_1)
	v_add_f64_e32 v[16:17], v[18:19], v[16:17]
	v_fma_f64 v[18:19], v[10:11], s[24:25], v[28:29]
	v_add_f64_e32 v[12:13], v[18:19], v[12:13]
	v_fma_f64 v[18:19], v[10:11], s[14:15], v[30:31]
	s_delay_alu instid0(VALU_DEP_1) | instskip(SKIP_1) | instid1(VALU_DEP_1)
	v_add_f64_e32 v[16:17], v[18:19], v[16:17]
	v_fma_f64 v[18:19], v[34:35], s[20:21], v[36:37]
	v_add_f64_e32 v[12:13], v[18:19], v[12:13]
	;; [unrolled: 5-line block ×3, first 2 shown]
	v_fma_f64 v[18:19], v[42:43], s[8:9], v[46:47]
	s_delay_alu instid0(VALU_DEP_1) | instskip(SKIP_2) | instid1(VALU_DEP_2)
	v_add_f64_e32 v[16:17], v[18:19], v[16:17]
	v_fma_f64 v[18:19], v[155:156], s[6:7], v[151:152]
	v_add_nc_u32_e32 v152, 0x800, v148
	v_add_f64_e32 v[12:13], v[18:19], v[12:13]
	v_fma_f64 v[18:19], v[155:156], s[20:21], v[157:158]
	s_delay_alu instid0(VALU_DEP_1)
	v_add_f64_e32 v[16:17], v[18:19], v[16:17]
	ds_store_2addr_b64 v152, v[16:17], v[12:13] offset0:4 offset1:30
	v_mul_f64_e32 v[12:13], s[18:19], v[14:15]
	v_fma_f64 v[14:15], v[4:5], s[6:7], -v[8:9]
	v_fma_f64 v[4:5], v[4:5], s[6:7], v[8:9]
	v_add_f64_e64 v[8:9], v[112:113], -v[64:65]
	s_delay_alu instid0(VALU_DEP_4) | instskip(NEXT) | instid1(VALU_DEP_4)
	v_fma_f64 v[16:17], v[6:7], s[8:9], -v[12:13]
	v_add_f64_e32 v[14:15], v[0:1], v[14:15]
	v_fma_f64 v[6:7], v[6:7], s[8:9], v[12:13]
	s_delay_alu instid0(VALU_DEP_4) | instskip(SKIP_1) | instid1(VALU_DEP_4)
	v_mul_f64_e32 v[28:29], s[16:17], v[8:9]
	v_mul_f64_e32 v[30:31], s[22:23], v[8:9]
	v_add_f64_e32 v[14:15], v[16:17], v[14:15]
	v_mul_f64_e32 v[16:17], s[28:29], v[26:27]
	v_mul_f64_e32 v[26:27], s[28:29], v[8:9]
	s_delay_alu instid0(VALU_DEP_2) | instskip(SKIP_1) | instid1(VALU_DEP_2)
	v_fma_f64 v[18:19], v[10:11], s[12:13], -v[16:17]
	v_fma_f64 v[10:11], v[10:11], s[12:13], v[16:17]
	v_add_f64_e32 v[14:15], v[18:19], v[14:15]
	v_mul_f64_e32 v[18:19], s[16:17], v[32:33]
	v_add_f64_e32 v[32:33], v[114:115], v[122:123]
	s_delay_alu instid0(VALU_DEP_2) | instskip(SKIP_1) | instid1(VALU_DEP_3)
	v_fma_f64 v[20:21], v[34:35], s[14:15], -v[18:19]
	v_fma_f64 v[16:17], v[34:35], s[14:15], v[18:19]
	v_fma_f64 v[44:45], v[32:33], s[14:15], -v[28:29]
	v_fma_f64 v[28:29], v[32:33], s[14:15], v[28:29]
	;; [unrolled: 2-line block ×3, first 2 shown]
	v_add_f64_e32 v[14:15], v[20:21], v[14:15]
	v_mul_f64_e32 v[20:21], s[22:23], v[40:41]
	v_fma_f64 v[40:41], v[32:33], s[12:13], -v[26:27]
	v_fma_f64 v[26:27], v[32:33], s[12:13], v[26:27]
	v_add_f64_e32 v[28:29], v[2:3], v[28:29]
	v_add_f64_e32 v[30:31], v[2:3], v[30:31]
	v_fma_f64 v[22:23], v[42:43], s[20:21], -v[20:21]
	v_fma_f64 v[18:19], v[42:43], s[20:21], v[20:21]
	v_add_f64_e32 v[26:27], v[2:3], v[26:27]
	s_delay_alu instid0(VALU_DEP_3) | instskip(SKIP_1) | instid1(VALU_DEP_1)
	v_add_f64_e32 v[14:15], v[22:23], v[14:15]
	v_mul_f64_e32 v[22:23], s[26:27], v[153:154]
	v_fma_f64 v[24:25], v[155:156], s[24:25], -v[22:23]
	v_fma_f64 v[20:21], v[155:156], s[24:25], v[22:23]
	v_add_f64_e32 v[22:23], v[70:71], v[120:121]
	s_delay_alu instid0(VALU_DEP_3) | instskip(SKIP_2) | instid1(VALU_DEP_2)
	v_add_f64_e32 v[14:15], v[24:25], v[14:15]
	v_add_f64_e32 v[24:25], v[0:1], v[136:137]
	;; [unrolled: 1-line block ×4, first 2 shown]
	s_delay_alu instid0(VALU_DEP_2) | instskip(SKIP_1) | instid1(VALU_DEP_3)
	v_add_f64_e32 v[0:1], v[6:7], v[0:1]
	v_add_f64_e64 v[6:7], v[60:61], -v[66:67]
	v_add_f64_e32 v[24:25], v[24:25], v[128:129]
	s_delay_alu instid0(VALU_DEP_3) | instskip(NEXT) | instid1(VALU_DEP_3)
	v_add_f64_e32 v[0:1], v[10:11], v[0:1]
	v_mul_f64_e32 v[34:35], s[18:19], v[6:7]
	v_add_f64_e64 v[10:11], v[54:55], -v[62:63]
	s_delay_alu instid0(VALU_DEP_4) | instskip(NEXT) | instid1(VALU_DEP_4)
	v_add_f64_e32 v[24:25], v[24:25], v[126:127]
	v_add_f64_e32 v[0:1], v[16:17], v[0:1]
	s_delay_alu instid0(VALU_DEP_4) | instskip(SKIP_1) | instid1(VALU_DEP_4)
	v_fma_f64 v[42:43], v[22:23], s[8:9], -v[34:35]
	v_add_f64_e64 v[16:17], v[52:53], -v[76:77]
	v_add_f64_e32 v[24:25], v[24:25], v[130:131]
	s_delay_alu instid0(VALU_DEP_4) | instskip(SKIP_1) | instid1(VALU_DEP_3)
	v_add_f64_e32 v[0:1], v[18:19], v[0:1]
	v_add_f64_e64 v[18:19], v[56:57], -v[72:73]
	v_add_f64_e32 v[24:25], v[24:25], v[124:125]
	s_delay_alu instid0(VALU_DEP_3) | instskip(NEXT) | instid1(VALU_DEP_3)
	v_add_f64_e32 v[0:1], v[20:21], v[0:1]
	v_mul_f64_e32 v[157:158], s[22:23], v[18:19]
	v_add_f64_e64 v[20:21], v[82:83], -v[92:93]
	s_delay_alu instid0(VALU_DEP_4) | instskip(SKIP_4) | instid1(VALU_DEP_3)
	v_add_f64_e32 v[24:25], v[24:25], v[134:135]
	ds_store_b64 v148, v[0:1] offset:2496
	v_and_b32_e32 v0, 0xffff, v149
	v_lshlrev_b32_e32 v1, 3, v150
	v_mul_f64_e32 v[161:162], s[26:27], v[20:21]
	v_mul_u32_u24_e32 v0, 0xa90, v0
	s_delay_alu instid0(VALU_DEP_1) | instskip(SKIP_1) | instid1(VALU_DEP_1)
	v_add3_u32 v149, 0, v0, v1
	v_add_f64_e32 v[24:25], v[24:25], v[138:139]
	v_add_f64_e32 v[24:25], v[24:25], v[140:141]
	s_delay_alu instid0(VALU_DEP_1) | instskip(NEXT) | instid1(VALU_DEP_1)
	v_add_f64_e32 v[24:25], v[24:25], v[142:143]
	v_add_f64_e32 v[24:25], v[24:25], v[144:145]
	s_delay_alu instid0(VALU_DEP_1) | instskip(SKIP_4) | instid1(VALU_DEP_3)
	v_add_f64_e32 v[24:25], v[24:25], v[146:147]
	ds_store_2addr_b64 v148, v[24:25], v[14:15] offset1:26
	v_mul_f64_e32 v[14:15], s[30:31], v[8:9]
	v_mul_f64_e32 v[24:25], s[18:19], v[8:9]
	;; [unrolled: 1-line block ×3, first 2 shown]
	v_fma_f64 v[36:37], v[32:33], s[6:7], -v[14:15]
	v_fma_f64 v[14:15], v[32:33], s[6:7], v[14:15]
	s_delay_alu instid0(VALU_DEP_4)
	v_fma_f64 v[38:39], v[32:33], s[8:9], -v[24:25]
	v_fma_f64 v[24:25], v[32:33], s[8:9], v[24:25]
	v_fma_f64 v[153:154], v[32:33], s[24:25], -v[8:9]
	v_fma_f64 v[8:9], v[32:33], s[24:25], v[8:9]
	v_add_f64_e32 v[32:33], v[2:3], v[40:41]
	v_add_f64_e32 v[4:5], v[2:3], v[36:37]
	;; [unrolled: 1-line block ×10, first 2 shown]
	v_mul_f64_e32 v[44:45], s[28:29], v[10:11]
	v_mul_f64_e32 v[153:154], s[16:17], v[16:17]
	v_add_f64_e32 v[4:5], v[42:43], v[4:5]
	v_add_f64_e32 v[42:43], v[84:85], v[118:119]
	v_add_f64_e32 v[0:1], v[2:3], v[70:71]
	s_delay_alu instid0(VALU_DEP_2) | instskip(NEXT) | instid1(VALU_DEP_2)
	v_fma_f64 v[46:47], v[42:43], s[12:13], -v[44:45]
	v_add_f64_e32 v[0:1], v[0:1], v[84:85]
	s_delay_alu instid0(VALU_DEP_2) | instskip(SKIP_1) | instid1(VALU_DEP_3)
	v_add_f64_e32 v[4:5], v[46:47], v[4:5]
	v_add_f64_e32 v[46:47], v[88:89], v[116:117]
	v_add_f64_e32 v[0:1], v[0:1], v[88:89]
	s_delay_alu instid0(VALU_DEP_2) | instskip(NEXT) | instid1(VALU_DEP_2)
	v_fma_f64 v[155:156], v[46:47], s[14:15], -v[153:154]
	v_add_f64_e32 v[0:1], v[0:1], v[102:103]
	s_delay_alu instid0(VALU_DEP_2) | instskip(SKIP_1) | instid1(VALU_DEP_3)
	;; [unrolled: 7-line block ×3, first 2 shown]
	v_add_f64_e32 v[4:5], v[159:160], v[4:5]
	v_add_f64_e32 v[159:160], v[104:105], v[108:109]
	;; [unrolled: 1-line block ×3, first 2 shown]
	s_delay_alu instid0(VALU_DEP_2) | instskip(NEXT) | instid1(VALU_DEP_2)
	v_fma_f64 v[163:164], v[159:160], s[24:25], -v[161:162]
	v_add_f64_e32 v[0:1], v[0:1], v[116:117]
	s_delay_alu instid0(VALU_DEP_2) | instskip(NEXT) | instid1(VALU_DEP_2)
	v_add_f64_e32 v[4:5], v[163:164], v[4:5]
	v_add_f64_e32 v[0:1], v[0:1], v[118:119]
	s_delay_alu instid0(VALU_DEP_1) | instskip(NEXT) | instid1(VALU_DEP_1)
	v_add_f64_e32 v[0:1], v[0:1], v[120:121]
	v_add_f64_e32 v[0:1], v[0:1], v[122:123]
	ds_store_2addr_b64 v149, v[0:1], v[4:5] offset1:26
	v_mul_f64_e32 v[0:1], s[16:17], v[6:7]
	v_mul_f64_e32 v[4:5], s[26:27], v[6:7]
	s_delay_alu instid0(VALU_DEP_2) | instskip(SKIP_1) | instid1(VALU_DEP_2)
	v_fma_f64 v[2:3], v[22:23], s[14:15], -v[0:1]
	v_fma_f64 v[0:1], v[22:23], s[14:15], v[0:1]
	v_add_f64_e32 v[2:3], v[2:3], v[14:15]
	s_delay_alu instid0(VALU_DEP_4) | instskip(NEXT) | instid1(VALU_DEP_3)
	v_fma_f64 v[14:15], v[22:23], s[24:25], -v[4:5]
	v_add_f64_e32 v[0:1], v[0:1], v[24:25]
	s_delay_alu instid0(VALU_DEP_2) | instskip(SKIP_1) | instid1(VALU_DEP_1)
	v_add_f64_e32 v[14:15], v[14:15], v[32:33]
	v_mul_f64_e32 v[32:33], s[26:27], v[10:11]
	v_fma_f64 v[150:151], v[42:43], s[24:25], -v[32:33]
	s_delay_alu instid0(VALU_DEP_1) | instskip(SKIP_1) | instid1(VALU_DEP_1)
	v_add_f64_e32 v[2:3], v[150:151], v[2:3]
	v_mul_f64_e32 v[150:151], s[40:41], v[10:11]
	v_fma_f64 v[163:164], v[42:43], s[14:15], -v[150:151]
	s_delay_alu instid0(VALU_DEP_1) | instskip(SKIP_1) | instid1(VALU_DEP_1)
	;; [unrolled: 4-line block ×7, first 2 shown]
	v_add_f64_e32 v[2:3], v[178:179], v[2:3]
	v_mul_f64_e32 v[178:179], s[22:23], v[20:21]
	v_fma_f64 v[180:181], v[159:160], s[20:21], -v[178:179]
	s_delay_alu instid0(VALU_DEP_1) | instskip(SKIP_2) | instid1(VALU_DEP_1)
	v_add_f64_e32 v[14:15], v[180:181], v[14:15]
	ds_store_2addr_b64 v149, v[2:3], v[14:15] offset0:52 offset1:78
	v_mul_f64_e32 v[2:3], s[38:39], v[6:7]
	v_fma_f64 v[14:15], v[22:23], s[20:21], -v[2:3]
	v_fma_f64 v[2:3], v[22:23], s[20:21], v[2:3]
	s_delay_alu instid0(VALU_DEP_2) | instskip(SKIP_2) | instid1(VALU_DEP_4)
	v_add_f64_e32 v[14:15], v[14:15], v[36:37]
	v_mul_f64_e32 v[36:37], s[36:37], v[6:7]
	v_mul_f64_e32 v[6:7], s[34:35], v[6:7]
	v_add_f64_e32 v[2:3], v[2:3], v[28:29]
	s_delay_alu instid0(VALU_DEP_3) | instskip(NEXT) | instid1(VALU_DEP_1)
	v_fma_f64 v[180:181], v[22:23], s[12:13], -v[36:37]
	v_add_f64_e32 v[38:39], v[180:181], v[38:39]
	v_mul_f64_e32 v[180:181], s[34:35], v[10:11]
	s_delay_alu instid0(VALU_DEP_1) | instskip(NEXT) | instid1(VALU_DEP_1)
	v_fma_f64 v[182:183], v[42:43], s[6:7], -v[180:181]
	v_add_f64_e32 v[14:15], v[182:183], v[14:15]
	v_mul_f64_e32 v[182:183], s[18:19], v[10:11]
	s_delay_alu instid0(VALU_DEP_1) | instskip(NEXT) | instid1(VALU_DEP_1)
	;; [unrolled: 4-line block ×8, first 2 shown]
	v_fma_f64 v[204:205], v[159:160], s[14:15], -v[202:203]
	v_add_f64_e32 v[38:39], v[204:205], v[38:39]
	ds_store_2addr_b64 v149, v[14:15], v[38:39] offset0:104 offset1:130
	v_fma_f64 v[14:15], v[22:23], s[6:7], -v[6:7]
	v_fma_f64 v[6:7], v[22:23], s[6:7], v[6:7]
	s_delay_alu instid0(VALU_DEP_2) | instskip(NEXT) | instid1(VALU_DEP_2)
	v_add_f64_e32 v[14:15], v[14:15], v[40:41]
	v_add_f64_e32 v[6:7], v[6:7], v[8:9]
	v_mul_f64_e32 v[8:9], s[22:23], v[10:11]
	s_delay_alu instid0(VALU_DEP_1) | instskip(SKIP_1) | instid1(VALU_DEP_2)
	v_fma_f64 v[10:11], v[42:43], s[20:21], -v[8:9]
	v_fma_f64 v[8:9], v[42:43], s[20:21], v[8:9]
	v_add_f64_e32 v[10:11], v[10:11], v[14:15]
	s_delay_alu instid0(VALU_DEP_2) | instskip(SKIP_2) | instid1(VALU_DEP_2)
	v_add_f64_e32 v[6:7], v[8:9], v[6:7]
	v_mul_f64_e32 v[8:9], s[42:43], v[16:17]
	v_fma_f64 v[16:17], v[46:47], s[6:7], v[165:166]
	v_fma_f64 v[14:15], v[46:47], s[8:9], -v[8:9]
	v_fma_f64 v[8:9], v[46:47], s[8:9], v[8:9]
	s_delay_alu instid0(VALU_DEP_2) | instskip(NEXT) | instid1(VALU_DEP_2)
	v_add_f64_e32 v[10:11], v[14:15], v[10:11]
	v_add_f64_e32 v[6:7], v[8:9], v[6:7]
	v_mul_f64_e32 v[8:9], s[16:17], v[18:19]
	s_delay_alu instid0(VALU_DEP_1) | instskip(SKIP_1) | instid1(VALU_DEP_2)
	v_fma_f64 v[14:15], v[155:156], s[14:15], -v[8:9]
	v_fma_f64 v[8:9], v[155:156], s[14:15], v[8:9]
	v_add_f64_e32 v[10:11], v[14:15], v[10:11]
	s_delay_alu instid0(VALU_DEP_2) | instskip(SKIP_1) | instid1(VALU_DEP_1)
	v_add_f64_e32 v[6:7], v[8:9], v[6:7]
	v_mul_f64_e32 v[8:9], s[36:37], v[20:21]
	v_fma_f64 v[14:15], v[159:160], s[12:13], -v[8:9]
	v_fma_f64 v[8:9], v[159:160], s[12:13], v[8:9]
	s_delay_alu instid0(VALU_DEP_2) | instskip(NEXT) | instid1(VALU_DEP_2)
	v_add_f64_e32 v[10:11], v[14:15], v[10:11]
	v_add_f64_e32 v[6:7], v[8:9], v[6:7]
	v_fma_f64 v[8:9], v[42:43], s[6:7], v[180:181]
	v_fma_f64 v[14:15], v[46:47], s[20:21], v[163:164]
	ds_store_2addr_b64 v149, v[10:11], v[6:7] offset0:156 offset1:182
	v_fma_f64 v[6:7], v[22:23], s[12:13], v[36:37]
	v_add_f64_e32 v[2:3], v[8:9], v[2:3]
	v_fma_f64 v[8:9], v[42:43], s[8:9], v[182:183]
	v_fma_f64 v[10:11], v[42:43], s[14:15], v[150:151]
	v_add_nc_u32_e32 v150, 0x800, v149
	v_add_nc_u32_e32 v151, 0x1c00, v189
	v_add_f64_e32 v[6:7], v[6:7], v[30:31]
	s_delay_alu instid0(VALU_DEP_1) | instskip(SKIP_1) | instid1(VALU_DEP_1)
	v_add_f64_e32 v[6:7], v[8:9], v[6:7]
	v_fma_f64 v[8:9], v[46:47], s[12:13], v[184:185]
	v_add_f64_e32 v[2:3], v[8:9], v[2:3]
	v_fma_f64 v[8:9], v[46:47], s[24:25], v[186:187]
	s_delay_alu instid0(VALU_DEP_1) | instskip(SKIP_1) | instid1(VALU_DEP_1)
	v_add_f64_e32 v[6:7], v[8:9], v[6:7]
	v_fma_f64 v[8:9], v[155:156], s[24:25], v[191:192]
	v_add_f64_e32 v[2:3], v[8:9], v[2:3]
	v_fma_f64 v[8:9], v[155:156], s[6:7], v[198:199]
	s_delay_alu instid0(VALU_DEP_1) | instskip(SKIP_1) | instid1(VALU_DEP_1)
	v_add_f64_e32 v[6:7], v[8:9], v[6:7]
	v_fma_f64 v[8:9], v[159:160], s[8:9], v[200:201]
	v_add_f64_e32 v[2:3], v[8:9], v[2:3]
	v_fma_f64 v[8:9], v[159:160], s[14:15], v[202:203]
	s_delay_alu instid0(VALU_DEP_1)
	v_add_f64_e32 v[6:7], v[8:9], v[6:7]
	v_fma_f64 v[8:9], v[42:43], s[24:25], v[32:33]
	ds_store_2addr_b64 v149, v[6:7], v[2:3] offset0:208 offset1:234
	v_fma_f64 v[2:3], v[22:23], s[24:25], v[4:5]
	v_fma_f64 v[4:5], v[22:23], s[8:9], v[34:35]
	;; [unrolled: 1-line block ×3, first 2 shown]
	v_add_f64_e32 v[0:1], v[8:9], v[0:1]
	v_fma_f64 v[8:9], v[155:156], s[12:13], v[172:173]
	v_add_f64_e32 v[2:3], v[2:3], v[26:27]
	v_add_f64_e32 v[4:5], v[4:5], v[12:13]
	v_fma_f64 v[12:13], v[46:47], s[14:15], v[153:154]
	v_add_f64_e32 v[0:1], v[14:15], v[0:1]
	v_fma_f64 v[14:15], v[159:160], s[6:7], v[176:177]
                                        ; implicit-def: $vgpr176_vgpr177
	v_add_f64_e32 v[2:3], v[10:11], v[2:3]
	v_add_f64_e32 v[4:5], v[6:7], v[4:5]
	v_fma_f64 v[10:11], v[155:156], s[8:9], v[174:175]
	v_fma_f64 v[6:7], v[155:156], s[20:21], v[157:158]
	v_add_f64_e32 v[0:1], v[8:9], v[0:1]
	v_add_f64_e32 v[2:3], v[16:17], v[2:3]
	;; [unrolled: 1-line block ×3, first 2 shown]
	v_fma_f64 v[16:17], v[159:160], s[20:21], v[178:179]
	v_fma_f64 v[12:13], v[159:160], s[24:25], v[161:162]
	v_add_f64_e32 v[172:173], v[14:15], v[0:1]
                                        ; implicit-def: $vgpr178_vgpr179
	v_add_f64_e32 v[2:3], v[10:11], v[2:3]
	v_add_f64_e32 v[4:5], v[6:7], v[4:5]
	s_delay_alu instid0(VALU_DEP_2) | instskip(NEXT) | instid1(VALU_DEP_2)
	v_add_f64_e32 v[0:1], v[16:17], v[2:3]
	v_add_f64_e32 v[174:175], v[12:13], v[4:5]
	ds_store_2addr_b64 v150, v[0:1], v[172:173] offset0:4 offset1:30
	ds_store_b64 v149, v[174:175] offset:2496
	global_wb scope:SCOPE_SE
	s_wait_dscnt 0x0
	s_barrier_signal -1
	s_barrier_wait -1
	global_inv scope:SCOPE_SE
	ds_load_2addr_b64 v[8:11], v189 offset1:52
	ds_load_2addr_b64 v[20:23], v196 offset0:82 offset1:134
	ds_load_2addr_b64 v[24:27], v193 offset0:164 offset1:216
	;; [unrolled: 1-line block ×11, first 2 shown]
	s_and_saveexec_b32 s1, s0
	s_cbranch_execz .LBB0_15
; %bb.14:
	ds_load_b64 v[172:173], v189 offset:2496
	ds_load_b64 v[174:175], v189 offset:5200
	;; [unrolled: 1-line block ×4, first 2 shown]
.LBB0_15:
	s_wait_alu 0xfffe
	s_or_b32 exec_lo, exec_lo, s1
	v_add_f64_e64 v[136:137], v[136:137], -v[146:147]
	v_add_f64_e64 v[126:127], v[126:127], -v[140:141]
	;; [unrolled: 1-line block ×3, first 2 shown]
	v_add_f64_e32 v[134:135], v[106:107], v[58:59]
	v_add_f64_e64 v[132:133], v[132:133], -v[144:145]
	v_add_f64_e64 v[130:131], v[130:131], -v[138:139]
	;; [unrolled: 1-line block ×3, first 2 shown]
	global_wb scope:SCOPE_SE
	s_wait_dscnt 0x0
	s_barrier_signal -1
	s_barrier_wait -1
	global_inv scope:SCOPE_SE
	v_add_f64_e64 v[114:115], v[114:115], -v[122:123]
	v_add_f64_e32 v[218:219], v[112:113], v[64:65]
	v_add_f64_e32 v[106:107], v[48:49], v[106:107]
	;; [unrolled: 1-line block ×3, first 2 shown]
	v_add_f64_e64 v[70:71], v[70:71], -v[120:121]
	v_add_f64_e64 v[84:85], v[84:85], -v[118:119]
	v_mul_f64_e32 v[140:141], s[18:19], v[136:137]
	v_mul_f64_e32 v[165:166], s[38:39], v[126:127]
	;; [unrolled: 1-line block ×13, first 2 shown]
	v_fma_f64 v[138:139], v[134:135], s[8:9], -v[140:141]
	v_fma_f64 v[140:141], v[134:135], s[8:9], v[140:141]
	v_fma_f64 v[222:223], v[218:219], s[8:9], v[210:211]
	v_fma_f64 v[210:211], v[218:219], s[8:9], -v[210:211]
	v_fma_f64 v[224:225], v[218:219], s[12:13], v[212:213]
	v_fma_f64 v[212:213], v[218:219], s[12:13], -v[212:213]
	;; [unrolled: 2-line block ×4, first 2 shown]
	v_add_f64_e32 v[142:143], v[48:49], v[138:139]
	v_add_f64_e32 v[138:139], v[86:87], v[68:69]
	;; [unrolled: 1-line block ×7, first 2 shown]
	v_fma_f64 v[146:147], v[138:139], s[14:15], -v[144:145]
	v_fma_f64 v[157:158], v[138:139], s[24:25], -v[155:156]
	s_delay_alu instid0(VALU_DEP_2) | instskip(SKIP_1) | instid1(VALU_DEP_1)
	v_add_f64_e32 v[142:143], v[146:147], v[142:143]
	v_mul_f64_e32 v[146:147], s[28:29], v[136:137]
	v_fma_f64 v[153:154], v[134:135], s[12:13], -v[146:147]
	v_fma_f64 v[146:147], v[134:135], s[12:13], v[146:147]
	s_delay_alu instid0(VALU_DEP_2) | instskip(NEXT) | instid1(VALU_DEP_2)
	v_add_f64_e32 v[153:154], v[48:49], v[153:154]
	v_add_f64_e32 v[146:147], v[48:49], v[146:147]
	s_delay_alu instid0(VALU_DEP_2) | instskip(SKIP_1) | instid1(VALU_DEP_1)
	v_add_f64_e32 v[153:154], v[157:158], v[153:154]
	v_add_f64_e32 v[157:158], v[74:75], v[78:79]
	v_fma_f64 v[161:162], v[157:158], s[24:25], -v[159:160]
	s_delay_alu instid0(VALU_DEP_1) | instskip(SKIP_1) | instid1(VALU_DEP_1)
	v_add_f64_e32 v[142:143], v[161:162], v[142:143]
	v_mul_f64_e32 v[161:162], s[40:41], v[128:129]
	v_fma_f64 v[163:164], v[157:158], s[14:15], -v[161:162]
	s_delay_alu instid0(VALU_DEP_1) | instskip(SKIP_1) | instid1(VALU_DEP_1)
	v_add_f64_e32 v[153:154], v[163:164], v[153:154]
	v_add_f64_e32 v[163:164], v[80:81], v[96:97]
	v_fma_f64 v[180:181], v[163:164], s[20:21], -v[165:166]
	s_delay_alu instid0(VALU_DEP_1) | instskip(SKIP_1) | instid1(VALU_DEP_1)
	v_add_f64_e32 v[142:143], v[180:181], v[142:143]
	v_mul_f64_e32 v[180:181], s[34:35], v[126:127]
	v_fma_f64 v[182:183], v[163:164], s[6:7], -v[180:181]
	s_delay_alu instid0(VALU_DEP_1) | instskip(SKIP_1) | instid1(VALU_DEP_1)
	;; [unrolled: 8-line block ×3, first 2 shown]
	v_add_f64_e32 v[153:154], v[191:192], v[153:154]
	v_add_f64_e32 v[191:192], v[100:101], v[90:91]
	v_fma_f64 v[200:201], v[191:192], s[6:7], -v[198:199]
	s_delay_alu instid0(VALU_DEP_1) | instskip(SKIP_1) | instid1(VALU_DEP_1)
	v_add_f64_e32 v[142:143], v[200:201], v[142:143]
	v_mul_f64_e32 v[200:201], s[22:23], v[124:125]
	v_fma_f64 v[202:203], v[191:192], s[20:21], -v[200:201]
	s_delay_alu instid0(VALU_DEP_1)
	v_add_f64_e32 v[153:154], v[202:203], v[153:154]
	v_fma_f64 v[202:203], v[134:135], s[6:7], v[122:123]
	v_fma_f64 v[122:123], v[134:135], s[6:7], -v[122:123]
	ds_store_2addr_b64 v152, v[153:154], v[142:143] offset0:4 offset1:30
	v_mul_f64_e32 v[142:143], s[16:17], v[136:137]
	v_mul_f64_e32 v[152:153], s[22:23], v[136:137]
	;; [unrolled: 1-line block ×3, first 2 shown]
	v_add_f64_e32 v[202:203], v[48:49], v[202:203]
	v_add_f64_e32 v[122:123], v[48:49], v[122:123]
	v_fma_f64 v[204:205], v[134:135], s[14:15], v[142:143]
	v_fma_f64 v[142:143], v[134:135], s[14:15], -v[142:143]
	v_fma_f64 v[206:207], v[134:135], s[20:21], v[152:153]
	v_fma_f64 v[152:153], v[134:135], s[20:21], -v[152:153]
	;; [unrolled: 2-line block ×3, first 2 shown]
	v_mul_f64_e32 v[136:137], s[30:31], v[114:115]
	v_mul_f64_e32 v[114:115], s[26:27], v[114:115]
	v_add_f64_e32 v[204:205], v[48:49], v[204:205]
	v_add_f64_e32 v[142:143], v[48:49], v[142:143]
	;; [unrolled: 1-line block ×6, first 2 shown]
	v_fma_f64 v[220:221], v[218:219], s[6:7], v[136:137]
	v_fma_f64 v[136:137], v[218:219], s[6:7], -v[136:137]
	v_fma_f64 v[230:231], v[218:219], s[24:25], v[114:115]
	v_fma_f64 v[114:115], v[218:219], s[24:25], -v[114:115]
	v_add_f64_e32 v[218:219], v[50:51], v[222:223]
	v_add_f64_e32 v[222:223], v[50:51], v[226:227]
	;; [unrolled: 1-line block ×8, first 2 shown]
	v_fma_f64 v[114:115], v[138:139], s[14:15], v[144:145]
	v_fma_f64 v[144:145], v[157:158], s[24:25], v[159:160]
	s_delay_alu instid0(VALU_DEP_2) | instskip(SKIP_2) | instid1(VALU_DEP_3)
	v_add_f64_e32 v[114:115], v[114:115], v[140:141]
	v_fma_f64 v[140:141], v[138:139], s[24:25], v[155:156]
	v_mul_f64_e32 v[154:155], s[34:35], v[128:129]
	v_add_f64_e32 v[114:115], v[144:145], v[114:115]
	s_delay_alu instid0(VALU_DEP_3) | instskip(SKIP_1) | instid1(VALU_DEP_4)
	v_add_f64_e32 v[140:141], v[140:141], v[146:147]
	v_fma_f64 v[144:145], v[157:158], s[14:15], v[161:162]
	v_fma_f64 v[159:160], v[157:158], s[6:7], v[154:155]
	s_delay_alu instid0(VALU_DEP_2) | instskip(SKIP_1) | instid1(VALU_DEP_1)
	v_add_f64_e32 v[140:141], v[144:145], v[140:141]
	v_fma_f64 v[144:145], v[163:164], s[20:21], v[165:166]
	v_add_f64_e32 v[114:115], v[144:145], v[114:115]
	v_fma_f64 v[144:145], v[163:164], s[6:7], v[180:181]
	s_delay_alu instid0(VALU_DEP_1) | instskip(SKIP_1) | instid1(VALU_DEP_1)
	v_add_f64_e32 v[140:141], v[144:145], v[140:141]
	v_fma_f64 v[144:145], v[182:183], s[12:13], v[184:185]
	v_add_f64_e32 v[114:115], v[144:145], v[114:115]
	v_fma_f64 v[144:145], v[182:183], s[8:9], v[186:187]
	s_delay_alu instid0(VALU_DEP_1) | instskip(SKIP_1) | instid1(VALU_DEP_1)
	v_add_f64_e32 v[140:141], v[144:145], v[140:141]
	v_fma_f64 v[144:145], v[191:192], s[6:7], v[198:199]
	v_add_f64_e32 v[114:115], v[144:145], v[114:115]
	v_fma_f64 v[144:145], v[191:192], s[20:21], v[200:201]
	s_delay_alu instid0(VALU_DEP_1) | instskip(SKIP_4) | instid1(VALU_DEP_2)
	v_add_f64_e32 v[140:141], v[144:145], v[140:141]
	v_mul_f64_e32 v[144:145], s[36:37], v[132:133]
	ds_store_2addr_b64 v148, v[114:115], v[140:141] offset0:52 offset1:78
	v_mul_f64_e32 v[114:115], s[38:39], v[132:133]
	v_fma_f64 v[146:147], v[138:139], s[12:13], v[144:145]
	v_fma_f64 v[140:141], v[138:139], s[20:21], v[114:115]
	s_delay_alu instid0(VALU_DEP_2) | instskip(NEXT) | instid1(VALU_DEP_2)
	v_add_f64_e32 v[146:147], v[146:147], v[206:207]
	v_add_f64_e32 v[140:141], v[140:141], v[204:205]
	s_delay_alu instid0(VALU_DEP_1) | instskip(SKIP_1) | instid1(VALU_DEP_1)
	v_add_f64_e32 v[140:141], v[159:160], v[140:141]
	v_mul_f64_e32 v[159:160], s[18:19], v[128:129]
	v_fma_f64 v[161:162], v[157:158], s[8:9], v[159:160]
	s_delay_alu instid0(VALU_DEP_1) | instskip(SKIP_1) | instid1(VALU_DEP_1)
	v_add_f64_e32 v[146:147], v[161:162], v[146:147]
	v_mul_f64_e32 v[161:162], s[28:29], v[126:127]
	v_fma_f64 v[165:166], v[163:164], s[12:13], v[161:162]
	;; [unrolled: 4-line block ×7, first 2 shown]
	s_delay_alu instid0(VALU_DEP_1) | instskip(SKIP_2) | instid1(VALU_DEP_1)
	v_add_f64_e32 v[146:147], v[200:201], v[146:147]
	ds_store_2addr_b64 v148, v[140:141], v[146:147] offset0:104 offset1:130
	v_mul_f64_e32 v[140:141], s[34:35], v[132:133]
	v_fma_f64 v[146:147], v[138:139], s[6:7], v[140:141]
	v_fma_f64 v[140:141], v[138:139], s[6:7], -v[140:141]
	s_delay_alu instid0(VALU_DEP_2) | instskip(NEXT) | instid1(VALU_DEP_2)
	v_add_f64_e32 v[146:147], v[146:147], v[208:209]
	v_add_f64_e32 v[48:49], v[140:141], v[48:49]
	v_mul_f64_e32 v[140:141], s[22:23], v[128:129]
	s_delay_alu instid0(VALU_DEP_1) | instskip(SKIP_1) | instid1(VALU_DEP_2)
	v_fma_f64 v[200:201], v[157:158], s[20:21], v[140:141]
	v_fma_f64 v[140:141], v[157:158], s[20:21], -v[140:141]
	v_add_f64_e32 v[146:147], v[200:201], v[146:147]
	s_delay_alu instid0(VALU_DEP_2) | instskip(SKIP_1) | instid1(VALU_DEP_1)
	v_add_f64_e32 v[48:49], v[140:141], v[48:49]
	v_mul_f64_e32 v[140:141], s[42:43], v[126:127]
	v_fma_f64 v[200:201], v[163:164], s[8:9], v[140:141]
	v_fma_f64 v[140:141], v[163:164], s[8:9], -v[140:141]
	s_delay_alu instid0(VALU_DEP_2) | instskip(NEXT) | instid1(VALU_DEP_2)
	v_add_f64_e32 v[146:147], v[200:201], v[146:147]
	v_add_f64_e32 v[48:49], v[140:141], v[48:49]
	v_mul_f64_e32 v[140:141], s[16:17], v[130:131]
	s_delay_alu instid0(VALU_DEP_1) | instskip(SKIP_1) | instid1(VALU_DEP_2)
	v_fma_f64 v[200:201], v[182:183], s[14:15], v[140:141]
	v_fma_f64 v[140:141], v[182:183], s[14:15], -v[140:141]
	v_add_f64_e32 v[146:147], v[200:201], v[146:147]
	s_delay_alu instid0(VALU_DEP_2) | instskip(SKIP_1) | instid1(VALU_DEP_1)
	v_add_f64_e32 v[48:49], v[140:141], v[48:49]
	v_mul_f64_e32 v[140:141], s[36:37], v[124:125]
	v_fma_f64 v[200:201], v[191:192], s[12:13], v[140:141]
	v_fma_f64 v[140:141], v[191:192], s[12:13], -v[140:141]
	s_delay_alu instid0(VALU_DEP_2) | instskip(NEXT) | instid1(VALU_DEP_2)
	v_add_f64_e32 v[146:147], v[200:201], v[146:147]
	v_add_f64_e32 v[48:49], v[140:141], v[48:49]
	v_fma_f64 v[140:141], v[157:158], s[6:7], -v[154:155]
	ds_store_2addr_b64 v148, v[146:147], v[48:49] offset0:156 offset1:182
	v_fma_f64 v[48:49], v[138:139], s[20:21], -v[114:115]
	v_fma_f64 v[114:115], v[138:139], s[12:13], -v[144:145]
	s_delay_alu instid0(VALU_DEP_2) | instskip(NEXT) | instid1(VALU_DEP_2)
	v_add_f64_e32 v[48:49], v[48:49], v[142:143]
	v_add_f64_e32 v[114:115], v[114:115], v[152:153]
	s_delay_alu instid0(VALU_DEP_2) | instskip(SKIP_1) | instid1(VALU_DEP_1)
	v_add_f64_e32 v[48:49], v[140:141], v[48:49]
	v_fma_f64 v[140:141], v[157:158], s[8:9], -v[159:160]
	v_add_f64_e32 v[114:115], v[140:141], v[114:115]
	v_fma_f64 v[140:141], v[163:164], s[12:13], -v[161:162]
	s_delay_alu instid0(VALU_DEP_1) | instskip(SKIP_1) | instid1(VALU_DEP_1)
	v_add_f64_e32 v[48:49], v[140:141], v[48:49]
	v_fma_f64 v[140:141], v[163:164], s[24:25], -v[165:166]
	v_add_f64_e32 v[114:115], v[140:141], v[114:115]
	v_fma_f64 v[140:141], v[182:183], s[24:25], -v[180:181]
	s_delay_alu instid0(VALU_DEP_1) | instskip(SKIP_1) | instid1(VALU_DEP_1)
	v_add_f64_e32 v[48:49], v[140:141], v[48:49]
	v_fma_f64 v[140:141], v[182:183], s[6:7], -v[184:185]
                                        ; implicit-def: $vgpr184_vgpr185
	v_add_f64_e32 v[114:115], v[140:141], v[114:115]
	v_fma_f64 v[140:141], v[191:192], s[8:9], -v[186:187]
	s_delay_alu instid0(VALU_DEP_1) | instskip(SKIP_1) | instid1(VALU_DEP_1)
	v_add_f64_e32 v[48:49], v[140:141], v[48:49]
	v_fma_f64 v[140:141], v[191:192], s[14:15], -v[198:199]
	v_add_f64_e32 v[114:115], v[140:141], v[114:115]
	ds_store_2addr_b64 v148, v[114:115], v[48:49] offset0:208 offset1:234
	v_add_f64_e32 v[48:49], v[106:107], v[86:87]
	v_add_f64_e64 v[86:87], v[88:89], -v[116:117]
	v_add_f64_e64 v[88:89], v[102:103], -v[110:111]
	;; [unrolled: 1-line block ×3, first 2 shown]
	v_mul_f64_e32 v[106:107], s[28:29], v[128:129]
	v_mul_f64_e32 v[110:111], s[16:17], v[126:127]
	;; [unrolled: 1-line block ×4, first 2 shown]
	v_add_f64_e32 v[48:49], v[48:49], v[74:75]
	v_mul_f64_e32 v[74:75], s[18:19], v[132:133]
	v_fma_f64 v[108:109], v[157:158], s[12:13], v[106:107]
	v_fma_f64 v[106:107], v[157:158], s[12:13], -v[106:107]
	v_fma_f64 v[114:115], v[163:164], s[14:15], v[110:111]
	v_fma_f64 v[110:111], v[163:164], s[14:15], -v[110:111]
	v_add_f64_e32 v[48:49], v[48:49], v[80:81]
	v_fma_f64 v[104:105], v[138:139], s[8:9], v[74:75]
	v_fma_f64 v[74:75], v[138:139], s[8:9], -v[74:75]
	v_mul_f64_e32 v[80:81], s[22:23], v[130:131]
	s_delay_alu instid0(VALU_DEP_4)
	v_add_f64_e32 v[48:49], v[48:49], v[98:99]
	v_mul_f64_e32 v[98:99], s[26:27], v[124:125]
	v_mul_f64_e32 v[124:125], s[38:39], v[70:71]
	v_add_f64_e32 v[74:75], v[74:75], v[122:123]
	v_fma_f64 v[116:117], v[182:183], s[20:21], v[80:81]
	v_fma_f64 v[80:81], v[182:183], s[20:21], -v[80:81]
	v_add_f64_e32 v[48:49], v[48:49], v[100:101]
	v_add_f64_e32 v[100:101], v[112:113], v[60:61]
	;; [unrolled: 1-line block ×3, first 2 shown]
	v_mul_f64_e32 v[112:113], s[18:19], v[70:71]
	v_mul_f64_e32 v[70:71], s[34:35], v[70:71]
	v_add_f64_e32 v[74:75], v[106:107], v[74:75]
	v_fma_f64 v[118:119], v[191:192], s[24:25], v[98:99]
	v_fma_f64 v[98:99], v[191:192], s[24:25], -v[98:99]
	v_add_f64_e32 v[48:49], v[48:49], v[90:91]
	v_add_f64_e32 v[90:91], v[100:101], v[54:55]
	v_fma_f64 v[138:139], v[60:61], s[20:21], v[124:125]
	v_fma_f64 v[130:131], v[60:61], s[8:9], v[112:113]
	v_fma_f64 v[124:125], v[60:61], s[20:21], -v[124:125]
	v_add_f64_e32 v[54:55], v[54:55], v[62:63]
	v_mul_f64_e32 v[100:101], s[34:35], v[84:85]
	v_fma_f64 v[132:133], v[60:61], s[14:15], v[120:121]
	v_fma_f64 v[112:113], v[60:61], s[8:9], -v[112:113]
	v_fma_f64 v[120:121], v[60:61], s[14:15], -v[120:121]
	v_fma_f64 v[140:141], v[60:61], s[24:25], v[126:127]
	v_fma_f64 v[126:127], v[60:61], s[24:25], -v[126:127]
	v_fma_f64 v[142:143], v[60:61], s[12:13], v[128:129]
	;; [unrolled: 2-line block ×3, first 2 shown]
	v_fma_f64 v[60:61], v[60:61], s[6:7], -v[70:71]
	v_add_f64_e32 v[70:71], v[104:105], v[202:203]
	v_add_f64_e32 v[74:75], v[110:111], v[74:75]
	v_mul_f64_e32 v[110:111], s[44:45], v[88:89]
	v_add_f64_e32 v[48:49], v[48:49], v[94:95]
	v_add_f64_e32 v[90:91], v[90:91], v[52:53]
	v_mul_f64_e32 v[94:95], s[26:27], v[84:85]
	;; [unrolled: 3-line block ×3, first 2 shown]
	v_fma_f64 v[152:153], v[54:55], s[6:7], v[100:101]
	v_fma_f64 v[100:101], v[54:55], s[6:7], -v[100:101]
	v_add_f64_e32 v[122:123], v[132:133], v[218:219]
	v_add_f64_e32 v[120:121], v[120:121], v[210:211]
	;; [unrolled: 1-line block ×4, first 2 shown]
	v_mul_f64_e32 v[138:139], s[18:19], v[84:85]
	v_add_f64_e32 v[112:113], v[112:113], v[136:137]
	v_add_f64_e32 v[52:53], v[52:53], v[76:77]
	;; [unrolled: 1-line block ×6, first 2 shown]
	v_mul_f64_e32 v[128:129], s[44:45], v[86:87]
	v_add_f64_e32 v[74:75], v[80:81], v[74:75]
	v_add_f64_e32 v[48:49], v[48:49], v[96:97]
	;; [unrolled: 1-line block ×3, first 2 shown]
	v_fma_f64 v[146:147], v[54:55], s[24:25], v[94:95]
	v_fma_f64 v[94:95], v[54:55], s[24:25], -v[94:95]
	v_add_f64_e32 v[56:57], v[56:57], v[72:73]
	v_fma_f64 v[154:155], v[54:55], s[14:15], v[134:135]
	v_mul_f64_e32 v[96:97], s[38:39], v[86:87]
	v_add_f64_e32 v[100:101], v[100:101], v[124:125]
	v_mul_f64_e32 v[124:125], s[34:35], v[86:87]
	v_fma_f64 v[134:135], v[54:55], s[14:15], -v[134:135]
	v_fma_f64 v[156:157], v[54:55], s[8:9], v[138:139]
	v_fma_f64 v[138:139], v[54:55], s[8:9], -v[138:139]
	v_add_f64_e32 v[70:71], v[114:115], v[70:71]
	v_mul_f64_e32 v[114:115], s[34:35], v[88:89]
	v_add_f64_e32 v[48:49], v[48:49], v[78:79]
	v_add_f64_e32 v[90:91], v[90:91], v[82:83]
	v_add_f64_e32 v[82:83], v[82:83], v[92:93]
	v_add_f64_e32 v[106:107], v[146:147], v[122:123]
	v_mul_f64_e32 v[122:123], s[28:29], v[86:87]
	v_add_f64_e32 v[94:95], v[94:95], v[120:121]
	v_add_f64_e32 v[108:109], v[154:155], v[130:131]
	;; [unrolled: 1-line block ×3, first 2 shown]
	v_fma_f64 v[132:133], v[52:53], s[20:21], v[96:97]
	v_fma_f64 v[96:97], v[52:53], s[20:21], -v[96:97]
	v_mul_f64_e32 v[78:79], s[36:37], v[88:89]
	v_add_f64_e32 v[70:71], v[116:117], v[70:71]
	v_add_f64_e32 v[48:49], v[48:49], v[68:69]
	;; [unrolled: 1-line block ×3, first 2 shown]
	v_mul_f64_e32 v[92:93], s[28:29], v[84:85]
	v_mul_f64_e32 v[84:85], s[22:23], v[84:85]
	v_fma_f64 v[136:137], v[52:53], s[12:13], v[122:123]
	v_fma_f64 v[122:123], v[52:53], s[12:13], -v[122:123]
	v_mul_f64_e32 v[68:69], s[26:27], v[102:103]
	v_add_f64_e32 v[106:107], v[132:133], v[106:107]
	v_add_f64_e32 v[94:95], v[96:97], v[94:95]
	v_fma_f64 v[132:133], v[56:57], s[6:7], v[114:115]
	v_fma_f64 v[114:115], v[56:57], s[6:7], -v[114:115]
	v_add_f64_e32 v[48:49], v[48:49], v[58:59]
	v_add_f64_e32 v[72:73], v[90:91], v[72:73]
	v_fma_f64 v[140:141], v[54:55], s[12:13], v[92:93]
	v_fma_f64 v[92:93], v[54:55], s[12:13], -v[92:93]
	v_mul_f64_e32 v[90:91], s[16:17], v[86:87]
	v_fma_f64 v[158:159], v[54:55], s[20:21], v[84:85]
	v_fma_f64 v[54:55], v[54:55], s[20:21], -v[84:85]
	v_mul_f64_e32 v[86:87], s[42:43], v[86:87]
	v_add_f64_e32 v[84:85], v[142:143], v[224:225]
	v_add_f64_e32 v[142:143], v[144:145], v[226:227]
	v_fma_f64 v[144:145], v[52:53], s[24:25], v[128:129]
	v_fma_f64 v[128:129], v[52:53], s[24:25], -v[128:129]
	v_add_f64_e32 v[100:101], v[122:123], v[100:101]
	v_fma_f64 v[122:123], v[56:57], s[12:13], v[78:79]
	v_fma_f64 v[78:79], v[56:57], s[12:13], -v[78:79]
	v_add_f64_e32 v[72:73], v[72:73], v[76:77]
	v_add_f64_e32 v[104:105], v[140:141], v[104:105]
	v_fma_f64 v[140:141], v[52:53], s[6:7], v[124:125]
	v_fma_f64 v[130:131], v[52:53], s[14:15], v[90:91]
	v_add_f64_e32 v[92:93], v[92:93], v[112:113]
	v_mul_f64_e32 v[112:113], s[18:19], v[88:89]
	v_mul_f64_e32 v[76:77], s[22:23], v[88:89]
	v_fma_f64 v[90:91], v[52:53], s[14:15], -v[90:91]
	v_fma_f64 v[124:125], v[52:53], s[6:7], -v[124:125]
	v_fma_f64 v[146:147], v[52:53], s[8:9], v[86:87]
	v_fma_f64 v[52:53], v[52:53], s[8:9], -v[86:87]
	v_add_f64_e32 v[50:51], v[54:55], v[50:51]
	v_add_f64_e32 v[54:55], v[138:139], v[60:61]
	;; [unrolled: 1-line block ×4, first 2 shown]
	v_fma_f64 v[126:127], v[56:57], s[24:25], v[110:111]
	v_fma_f64 v[110:111], v[56:57], s[24:25], -v[110:111]
	v_add_f64_e32 v[86:87], v[158:159], v[142:143]
	v_mul_f64_e32 v[88:89], s[16:17], v[88:89]
	v_add_f64_e32 v[78:79], v[78:79], v[94:95]
	v_add_f64_e32 v[62:63], v[72:73], v[62:63]
	v_mul_f64_e32 v[72:73], s[34:35], v[102:103]
	v_add_f64_e32 v[96:97], v[140:141], v[108:109]
	v_add_f64_e32 v[104:105], v[130:131], v[104:105]
	;; [unrolled: 1-line block ×3, first 2 shown]
	v_fma_f64 v[130:131], v[56:57], s[8:9], v[112:113]
	v_fma_f64 v[120:121], v[56:57], s[20:21], v[76:77]
	v_fma_f64 v[76:77], v[56:57], s[20:21], -v[76:77]
	v_fma_f64 v[112:113], v[56:57], s[8:9], -v[112:113]
	v_add_f64_e32 v[50:51], v[52:53], v[50:51]
	v_add_f64_e32 v[52:53], v[128:129], v[54:55]
	;; [unrolled: 1-line block ×6, first 2 shown]
	v_mul_f64_e32 v[100:101], s[42:43], v[102:103]
	v_fma_f64 v[134:135], v[56:57], s[14:15], v[88:89]
	v_fma_f64 v[56:57], v[56:57], s[14:15], -v[88:89]
	v_add_f64_e32 v[86:87], v[146:147], v[86:87]
	v_add_f64_e32 v[88:89], v[122:123], v[106:107]
	v_fma_f64 v[106:107], v[82:83], s[24:25], v[68:69]
	v_fma_f64 v[68:69], v[82:83], s[24:25], -v[68:69]
	v_add_f64_e32 v[62:63], v[62:63], v[66:67]
	v_add_f64_e32 v[92:93], v[126:127], v[108:109]
	;; [unrolled: 1-line block ×3, first 2 shown]
	v_mul_f64_e32 v[96:97], s[22:23], v[102:103]
	v_add_f64_e32 v[80:81], v[120:121], v[104:105]
	v_mul_f64_e32 v[104:105], s[16:17], v[102:103]
	v_mul_f64_e32 v[102:103], s[36:37], v[102:103]
	v_fma_f64 v[108:109], v[82:83], s[6:7], v[72:73]
	v_fma_f64 v[72:73], v[82:83], s[6:7], -v[72:73]
	v_add_f64_e32 v[52:53], v[114:115], v[52:53]
	v_add_f64_e32 v[54:55], v[112:113], v[54:55]
	;; [unrolled: 1-line block ×3, first 2 shown]
	v_fma_f64 v[116:117], v[82:83], s[8:9], v[100:101]
	v_fma_f64 v[100:101], v[82:83], s[8:9], -v[100:101]
	v_add_f64_e32 v[50:51], v[56:57], v[50:51]
	v_add_f64_e32 v[84:85], v[134:135], v[86:87]
	;; [unrolled: 1-line block ×6, first 2 shown]
	v_fma_f64 v[110:111], v[82:83], s[20:21], v[96:97]
	v_fma_f64 v[96:97], v[82:83], s[20:21], -v[96:97]
	v_fma_f64 v[120:121], v[82:83], s[14:15], v[104:105]
	v_fma_f64 v[104:105], v[82:83], s[14:15], -v[104:105]
	;; [unrolled: 2-line block ×3, first 2 shown]
	v_add_f64_e32 v[74:75], v[106:107], v[80:81]
	v_add_f64_e32 v[76:77], v[108:109], v[88:89]
	;; [unrolled: 1-line block ×12, first 2 shown]
	ds_store_b64 v148, v[70:71] offset:2496
                                        ; implicit-def: $vgpr186_vgpr187
	ds_store_2addr_b64 v148, v[48:49], v[60:61] offset1:26
	ds_store_2addr_b64 v149, v[58:59], v[74:75] offset1:26
	ds_store_2addr_b64 v149, v[76:77], v[72:73] offset0:52 offset1:78
	ds_store_2addr_b64 v149, v[78:79], v[62:63] offset0:104 offset1:130
	;; [unrolled: 1-line block ×5, first 2 shown]
	ds_store_b64 v149, v[182:183] offset:2496
	global_wb scope:SCOPE_SE
	s_wait_dscnt 0x0
	s_barrier_signal -1
	s_barrier_wait -1
	global_inv scope:SCOPE_SE
	ds_load_2addr_b64 v[76:79], v196 offset0:82 offset1:134
	ds_load_2addr_b64 v[84:87], v193 offset0:164 offset1:216
	;; [unrolled: 1-line block ×10, first 2 shown]
	ds_load_2addr_b64 v[56:59], v189 offset1:52
	ds_load_2addr_b64 v[52:55], v189 offset0:104 offset1:156
	s_and_saveexec_b32 s1, s0
	s_cbranch_execz .LBB0_17
; %bb.16:
	ds_load_b64 v[180:181], v189 offset:2496
	ds_load_b64 v[182:183], v189 offset:5200
	;; [unrolled: 1-line block ×4, first 2 shown]
	v_add_nc_u32_e32 v197, 0x138, v190
.LBB0_17:
	s_wait_alu 0xfffe
	s_or_b32 exec_lo, exec_lo, s1
	s_and_saveexec_b32 s0, vcc_lo
	s_cbranch_execz .LBB0_20
; %bb.18:
	v_mul_u32_u24_e32 v96, 3, v255
	v_mov_b32_e32 v189, 0
	v_mad_u32_u24 v188, v255, 3, 0xffffff64
	v_mul_u32_u24_e32 v99, 3, v190
	v_mul_lo_u32 v194, s2, v171
	s_delay_alu instid0(VALU_DEP_4) | instskip(NEXT) | instid1(VALU_DEP_4)
	v_dual_mov_b32 v193, v189 :: v_dual_lshlrev_b32 v98, 4, v96
	v_lshlrev_b64_e32 v[96:97], 4, v[188:189]
	v_mad_u32_u24 v188, v255, 3, 0xfffffec8
	v_lshlrev_b32_e32 v140, 4, v99
	s_clause 0x4
	global_load_b128 v[164:167], v98, s[4:5] offset:5392
	global_load_b128 v[152:155], v98, s[4:5] offset:5408
	;; [unrolled: 1-line block ×5, first 2 shown]
	v_lshlrev_b64_e32 v[98:99], 4, v[188:189]
	v_mad_u32_u24 v188, v255, 3, 0xfffffe2c
	v_add_co_u32 v100, vcc_lo, s4, v96
	s_wait_alu 0xfffd
	v_add_co_ci_u32_e32 v101, vcc_lo, s5, v97, vcc_lo
	s_delay_alu instid0(VALU_DEP_3) | instskip(SKIP_4) | instid1(VALU_DEP_3)
	v_lshlrev_b64_e32 v[112:113], 4, v[188:189]
	v_mad_u32_u24 v188, v255, 3, 0xfffffd90
	v_add_co_u32 v120, vcc_lo, s4, v98
	s_wait_alu 0xfffd
	v_add_co_ci_u32_e32 v121, vcc_lo, s5, v99, vcc_lo
	v_lshlrev_b64_e32 v[114:115], 4, v[188:189]
	v_add_co_u32 v122, vcc_lo, s4, v112
	s_wait_alu 0xfffd
	v_add_co_ci_u32_e32 v123, vcc_lo, s5, v113, vcc_lo
	s_clause 0x2
	global_load_b128 v[96:99], v[100:101], off offset:5408
	global_load_b128 v[124:127], v[100:101], off offset:5392
	;; [unrolled: 1-line block ×3, first 2 shown]
	v_add_co_u32 v132, vcc_lo, s4, v114
	s_wait_alu 0xfffd
	v_add_co_ci_u32_e32 v133, vcc_lo, s5, v115, vcc_lo
	s_clause 0x9
	global_load_b128 v[104:107], v[120:121], off offset:5392
	global_load_b128 v[108:111], v[120:121], off offset:5376
	;; [unrolled: 1-line block ×7, first 2 shown]
	global_load_b128 v[148:151], v140, s[4:5] offset:5376
	global_load_b128 v[140:143], v[122:123], off offset:5408
	global_load_b128 v[120:123], v[120:121], off offset:5408
	v_mul_lo_u32 v188, s3, v170
	v_mad_co_u64_u32 v[170:171], null, s2, v170, 0
	v_mul_hi_u32 v198, 0x60f25deb, v190
	v_dual_mov_b32 v196, v189 :: v_dual_add_nc_u32 v201, 52, v190
	v_lshlrev_b64_e32 v[191:192], 4, v[168:169]
	v_dual_mov_b32 v199, v189 :: v_dual_add_nc_u32 v210, 0x104, v190
	s_delay_alu instid0(VALU_DEP_3)
	v_mul_hi_u32 v211, 0x60f25deb, v201
	v_add3_u32 v171, v171, v194, v188
	v_lshrrev_b32_e32 v169, 7, v198
	v_dual_mov_b32 v195, v189 :: v_dual_add_nc_u32 v204, 0x68, v190
	v_dual_mov_b32 v200, v189 :: v_dual_add_nc_u32 v207, 0x9c, v190
	;; [unrolled: 1-line block ×3, first 2 shown]
	s_delay_alu instid0(VALU_DEP_4)
	v_mul_u32_u24_e32 v188, 0x152, v169
	v_lshlrev_b64_e32 v[169:170], 4, v[170:171]
	v_lshrrev_b32_e32 v171, 7, v211
	v_mul_hi_u32 v215, 0x60f25deb, v210
	v_mul_hi_u32 v212, 0x60f25deb, v204
	;; [unrolled: 1-line block ×4, first 2 shown]
	v_mul_u32_u24_e32 v194, 0x152, v171
	v_add_co_u32 v169, s0, s10, v169
	v_sub_nc_u32_e32 v188, v190, v188
	v_lshrrev_b32_e32 v247, 7, v215
	s_wait_alu 0xf1fe
	v_add_co_ci_u32_e64 v215, s0, s11, v170, s0
	v_sub_nc_u32_e32 v170, v201, v194
	v_lshrrev_b32_e32 v198, 7, v212
	v_lshrrev_b32_e32 v245, 7, v213
	;; [unrolled: 1-line block ×3, first 2 shown]
	v_lshlrev_b32_e32 v216, 4, v188
	v_mad_u32_u24 v188, 0x548, v171, v170
	v_mul_u32_u24_e32 v211, 0x152, v198
	v_mul_u32_u24_e32 v212, 0x152, v245
	;; [unrolled: 1-line block ×4, first 2 shown]
	v_add_co_u32 v170, s0, v169, v191
	s_wait_alu 0xf1ff
	v_add_co_ci_u32_e64 v171, s0, v215, v192, s0
	v_add_nc_u32_e32 v192, 0x152, v188
	v_sub_nc_u32_e32 v201, v204, v211
	v_sub_nc_u32_e32 v204, v207, v212
	;; [unrolled: 1-line block ×4, first 2 shown]
	v_lshlrev_b64_e32 v[209:210], 4, v[188:189]
	v_add_nc_u32_e32 v194, 0x2a4, v188
	v_add_nc_u32_e32 v188, 0x3f6, v188
	v_add_co_u32 v211, s0, v170, v216
	v_lshlrev_b64_e32 v[191:192], 4, v[192:193]
	s_wait_alu 0xf1ff
	v_add_co_ci_u32_e64 v212, s0, 0, v171, s0
	v_lshlrev_b64_e32 v[213:214], 4, v[188:189]
	v_mad_u32_u24 v188, 0x548, v198, v201
	v_lshlrev_b64_e32 v[193:194], 4, v[194:195]
	v_add_co_u32 v209, s0, v170, v209
	s_wait_alu 0xf1ff
	v_add_co_ci_u32_e64 v210, s0, v171, v210, s0
	v_add_co_u32 v191, s0, v170, v191
	v_dual_mov_b32 v208, v189 :: v_dual_add_nc_u32 v195, 0x152, v188
	s_wait_alu 0xf1ff
	v_add_co_ci_u32_e64 v192, s0, v171, v192, s0
	v_lshlrev_b64_e32 v[215:216], 4, v[188:189]
	v_add_nc_u32_e32 v198, 0x2a4, v188
	v_add_nc_u32_e32 v188, 0x3f6, v188
	v_add_co_u32 v193, s0, v170, v193
	s_wait_alu 0xf1ff
	v_add_co_ci_u32_e64 v194, s0, v171, v194, s0
	v_add_co_u32 v213, s0, v170, v213
	s_wait_alu 0xf1ff
	v_add_co_ci_u32_e64 v214, s0, v171, v214, s0
	v_dual_mov_b32 v203, v189 :: v_dual_add_nc_u32 v168, 0x138, v190
	v_dual_mov_b32 v205, v189 :: v_dual_mov_b32 v206, v189
	s_delay_alu instid0(VALU_DEP_2)
	v_cmp_gt_u32_e32 vcc_lo, 0x152, v168
	s_wait_loadcnt_dscnt 0x1002
	v_mul_f64_e32 v[221:222], v[70:71], v[154:155]
	s_wait_loadcnt 0xf
	v_mul_f64_e32 v[219:220], v[62:63], v[162:163]
	v_mul_f64_e32 v[162:163], v[42:43], v[162:163]
	;; [unrolled: 1-line block ×5, first 2 shown]
	s_wait_loadcnt 0xd
	v_mul_f64_e32 v[223:224], v[24:25], v[158:159]
	v_mul_f64_e32 v[158:159], v[84:85], v[158:159]
	;; [unrolled: 1-line block ×4, first 2 shown]
	s_wait_loadcnt 0xc
	v_mul_f64_e32 v[231:232], v[68:69], v[98:99]
	s_wait_loadcnt 0xb
	v_mul_f64_e32 v[227:228], v[92:93], v[124:125]
	v_mul_f64_e32 v[92:93], v[92:93], v[126:127]
	s_wait_loadcnt 0x7
	v_mul_f64_e32 v[237:238], v[88:89], v[112:113]
	s_wait_loadcnt 0x5
	;; [unrolled: 2-line block ×3, first 2 shown]
	v_mul_f64_e32 v[243:244], v[78:79], v[146:147]
	v_mul_f64_e32 v[233:234], v[90:91], v[104:105]
	;; [unrolled: 1-line block ×13, first 2 shown]
	v_fma_f64 v[46:47], v[46:47], v[152:153], -v[221:222]
	v_fma_f64 v[42:43], v[42:43], v[160:161], -v[219:220]
	v_fma_f64 v[62:63], v[62:63], v[160:161], v[162:163]
	s_wait_loadcnt 0x2
	v_mul_f64_e32 v[160:161], v[20:21], v[150:151]
	v_mul_f64_e32 v[150:151], v[76:77], v[150:151]
	v_fma_f64 v[166:167], v[38:39], v[166:167], v[217:218]
	v_fma_f64 v[38:39], v[38:39], v[164:165], -v[94:95]
	v_mul_f64_e32 v[94:95], v[82:83], v[134:135]
	v_mul_f64_e32 v[134:135], v[30:31], v[134:135]
	v_fma_f64 v[70:71], v[70:71], v[152:153], v[154:155]
	s_wait_loadcnt 0x1
	v_mul_f64_e32 v[152:153], v[12:13], v[142:143]
	v_mul_f64_e32 v[142:143], v[72:73], v[142:143]
	s_wait_loadcnt 0x0
	v_mul_f64_e32 v[154:155], v[14:15], v[122:123]
	v_mul_f64_e32 v[122:123], v[74:75], v[122:123]
	v_fma_f64 v[84:85], v[84:85], v[156:157], v[223:224]
	v_fma_f64 v[24:25], v[24:25], v[156:157], -v[158:159]
	v_fma_f64 v[28:29], v[28:29], v[136:137], -v[225:226]
	v_fma_f64 v[80:81], v[80:81], v[136:137], v[138:139]
	v_lshlrev_b64_e32 v[136:137], 4, v[195:196]
	v_lshlrev_b64_e32 v[156:157], 4, v[188:189]
	v_fma_f64 v[44:45], v[44:45], v[96:97], -v[231:232]
	v_fma_f64 v[126:127], v[36:37], v[126:127], v[227:228]
	v_fma_f64 v[36:37], v[36:37], v[124:125], -v[92:93]
	v_mad_u32_u24 v188, 0x548, v245, v204
	v_lshlrev_b64_e32 v[138:139], 4, v[198:199]
	v_fma_f64 v[22:23], v[22:23], v[144:145], -v[243:244]
	v_fma_f64 v[92:93], v[18:19], v[106:107], v[233:234]
	v_fma_f64 v[106:107], v[16:17], v[114:115], v[237:238]
	;; [unrolled: 1-line block ×4, first 2 shown]
	v_fma_f64 v[26:27], v[26:27], v[128:129], -v[86:87]
	v_fma_f64 v[32:33], v[32:33], v[116:117], -v[239:240]
	v_fma_f64 v[64:65], v[64:65], v[116:117], v[118:119]
	v_fma_f64 v[16:17], v[16:17], v[112:113], -v[88:89]
	v_fma_f64 v[34:35], v[34:35], v[108:109], -v[235:236]
	v_fma_f64 v[66:67], v[66:67], v[108:109], v[110:111]
	;; [unrolled: 3-line block ×3, first 2 shown]
	v_fma_f64 v[68:69], v[68:69], v[96:97], v[98:99]
	v_add_f64_e64 v[46:47], v[42:43], -v[46:47]
	v_fma_f64 v[76:77], v[76:77], v[148:149], v[160:161]
	v_fma_f64 v[20:21], v[20:21], v[148:149], -v[150:151]
	v_add_co_u32 v158, s0, v170, v215
	v_fma_f64 v[30:31], v[30:31], v[132:133], -v[94:95]
	v_fma_f64 v[82:83], v[82:83], v[132:133], v[134:135]
	v_add_f64_e64 v[102:103], v[2:3], -v[38:39]
	v_fma_f64 v[72:73], v[72:73], v[140:141], v[152:153]
	v_fma_f64 v[12:13], v[12:13], v[140:141], -v[142:143]
	v_fma_f64 v[74:75], v[74:75], v[120:121], v[154:155]
	v_fma_f64 v[14:15], v[14:15], v[120:121], -v[122:123]
	v_add_f64_e64 v[70:71], v[62:63], -v[70:71]
	s_wait_dscnt 0x1
	v_add_f64_e64 v[84:85], v[56:57], -v[84:85]
	v_add_f64_e64 v[104:105], v[8:9], -v[24:25]
	;; [unrolled: 1-line block ×3, first 2 shown]
	s_wait_alu 0xf1ff
	v_add_co_ci_u32_e64 v159, s0, v171, v216, s0
	v_add_co_u32 v96, s0, v170, v136
	v_add_f64_e64 v[116:117], v[0:1], -v[36:37]
	v_add_nc_u32_e32 v199, 0x152, v188
	s_wait_alu 0xf1ff
	v_add_co_ci_u32_e64 v97, s0, v171, v137, s0
	s_wait_dscnt 0x0
	v_add_f64_e64 v[92:93], v[54:55], -v[92:93]
	v_lshlrev_b64_e32 v[162:163], 4, v[188:189]
	v_add_f64_e64 v[108:109], v[58:59], -v[114:115]
	v_add_f64_e64 v[114:115], v[48:49], -v[126:127]
	v_add_co_u32 v98, s0, v170, v138
	v_add_nc_u32_e32 v201, 0x2a4, v188
	s_wait_alu 0xf1ff
	v_add_co_ci_u32_e64 v99, s0, v171, v139, s0
	v_add_co_u32 v100, s0, v170, v156
	v_add_f64_e64 v[110:111], v[6:7], -v[18:19]
	v_add_f64_e64 v[36:37], v[40:41], -v[44:45]
	;; [unrolled: 1-line block ×3, first 2 shown]
	v_lshlrev_b64_e32 v[86:87], 4, v[199:200]
	v_add_f64_e64 v[38:39], v[76:77], -v[80:81]
	v_add_f64_e64 v[28:29], v[20:21], -v[28:29]
	;; [unrolled: 1-line block ×3, first 2 shown]
	s_wait_alu 0xf1ff
	v_add_co_ci_u32_e64 v101, s0, v171, v157, s0
	v_add_f64_e64 v[24:25], v[78:79], -v[82:83]
	v_add_f64_e64 v[26:27], v[22:23], -v[30:31]
	;; [unrolled: 1-line block ×8, first 2 shown]
	v_add_co_u32 v118, s0, v170, v162
	v_lshlrev_b64_e32 v[88:89], 4, v[201:202]
	s_wait_alu 0xf1ff
	v_add_co_ci_u32_e64 v119, s0, v171, v163, s0
	v_add_co_u32 v120, s0, v170, v86
	v_fma_f64 v[44:45], v[62:63], 2.0, -v[70:71]
	v_fma_f64 v[56:57], v[56:57], 2.0, -v[84:85]
	;; [unrolled: 1-line block ×3, first 2 shown]
	s_wait_alu 0xf1ff
	v_add_co_ci_u32_e64 v121, s0, v171, v87, s0
	v_fma_f64 v[86:87], v[58:59], 2.0, -v[108:109]
	v_add_co_u32 v122, s0, v170, v88
	s_wait_alu 0xf1ff
	v_add_co_ci_u32_e64 v123, s0, v171, v89, s0
	v_fma_f64 v[88:89], v[50:51], 2.0, -v[94:95]
	v_fma_f64 v[124:125], v[54:55], 2.0, -v[92:93]
	;; [unrolled: 1-line block ×12, first 2 shown]
	v_add_nc_u32_e32 v188, 0x3f6, v188
	v_fma_f64 v[16:17], v[78:79], 2.0, -v[24:25]
	v_fma_f64 v[20:21], v[22:23], 2.0, -v[26:27]
	;; [unrolled: 1-line block ×8, first 2 shown]
	v_lshlrev_b64_e32 v[90:91], 4, v[188:189]
	v_mad_u32_u24 v188, 0x548, v246, v207
	v_add_f64_e32 v[10:11], v[84:85], v[28:29]
	v_add_f64_e64 v[8:9], v[104:105], -v[38:39]
	v_add_f64_e32 v[6:7], v[108:109], v[26:27]
	v_add_f64_e64 v[4:5], v[80:81], -v[24:25]
	v_lshlrev_b64_e32 v[12:13], 4, v[188:189]
	v_add_co_u32 v134, s0, v170, v90
	s_wait_alu 0xf1ff
	v_add_co_ci_u32_e64 v135, s0, v171, v91, s0
	v_add_f64_e32 v[22:23], v[82:83], v[106:107]
	s_delay_alu instid0(VALU_DEP_4)
	v_add_co_u32 v136, s0, v170, v12
	s_wait_alu 0xf1ff
	v_add_co_ci_u32_e64 v137, s0, v171, v13, s0
	v_add_f64_e64 v[28:29], v[110:111], -v[74:75]
	v_add_f64_e32 v[38:39], v[114:115], v[36:37]
	v_add_f64_e64 v[36:37], v[116:117], -v[68:69]
	v_add_f64_e32 v[2:3], v[94:95], v[46:47]
	v_add_f64_e64 v[46:47], v[88:89], -v[44:45]
	v_add_nc_u32_e32 v202, 0x152, v188
	v_add_f64_e64 v[40:41], v[130:131], -v[0:1]
	v_add_f64_e64 v[42:43], v[128:129], -v[48:49]
	;; [unrolled: 1-line block ×5, first 2 shown]
	v_add_nc_u32_e32 v204, 0x2a4, v188
	v_add_f64_e64 v[44:45], v[132:133], -v[58:59]
	v_lshlrev_b64_e32 v[60:61], 4, v[202:203]
	v_add_f64_e64 v[18:19], v[86:87], -v[16:17]
	v_add_f64_e64 v[16:17], v[76:77], -v[20:21]
	;; [unrolled: 1-line block ×4, first 2 shown]
	v_add_f64_e32 v[30:31], v[92:93], v[112:113]
	v_add_f64_e64 v[24:25], v[64:65], -v[32:33]
	v_add_f64_e64 v[34:35], v[124:125], -v[52:53]
	;; [unrolled: 1-line block ×3, first 2 shown]
	v_lshlrev_b64_e32 v[66:67], 4, v[204:205]
	v_add_co_u32 v106, s0, v170, v60
	v_fma_f64 v[54:55], v[84:85], 2.0, -v[10:11]
	v_fma_f64 v[52:53], v[104:105], 2.0, -v[8:9]
	s_wait_alu 0xf1ff
	v_add_co_ci_u32_e64 v107, s0, v171, v61, s0
	v_fma_f64 v[50:51], v[108:109], 2.0, -v[6:7]
	v_fma_f64 v[48:49], v[80:81], 2.0, -v[4:5]
	v_add_nc_u32_e32 v188, 0x3f6, v188
	v_add_co_u32 v112, s0, v170, v66
	s_wait_alu 0xf1ff
	v_add_co_ci_u32_e64 v113, s0, v171, v67, s0
	v_fma_f64 v[66:67], v[82:83], 2.0, -v[22:23]
	v_lshlrev_b64_e32 v[90:91], 4, v[188:189]
	v_mad_u32_u24 v188, 0x548, v247, v248
	v_fma_f64 v[82:83], v[114:115], 2.0, -v[38:39]
	v_fma_f64 v[80:81], v[116:117], 2.0, -v[36:37]
	s_delay_alu instid0(VALU_DEP_4)
	v_add_co_u32 v140, s0, v170, v90
	v_fma_f64 v[84:85], v[130:131], 2.0, -v[40:41]
	v_add_nc_u32_e32 v205, 0x152, v188
	v_fma_f64 v[58:59], v[56:57], 2.0, -v[14:15]
	v_fma_f64 v[56:57], v[62:63], 2.0, -v[12:13]
	s_wait_alu 0xf1ff
	v_add_co_ci_u32_e64 v141, s0, v171, v91, s0
	v_fma_f64 v[90:91], v[94:95], 2.0, -v[2:3]
	v_fma_f64 v[62:63], v[86:87], 2.0, -v[18:19]
	;; [unrolled: 1-line block ×13, first 2 shown]
	v_lshlrev_b64_e32 v[138:139], 4, v[188:189]
	v_fma_f64 v[88:89], v[102:103], 2.0, -v[0:1]
	v_add_nc_u32_e32 v207, 0x2a4, v188
	v_lshlrev_b64_e32 v[142:143], 4, v[205:206]
	v_add_nc_u32_e32 v188, 0x3f6, v188
	v_add_co_u32 v102, s0, v170, v138
	s_delay_alu instid0(VALU_DEP_4)
	v_lshlrev_b64_e32 v[144:145], 4, v[207:208]
	s_wait_alu 0xf1ff
	v_add_co_ci_u32_e64 v103, s0, v171, v139, s0
	v_lshlrev_b64_e32 v[146:147], 4, v[188:189]
	v_add_co_u32 v104, s0, v170, v142
	s_wait_alu 0xf1ff
	v_add_co_ci_u32_e64 v105, s0, v171, v143, s0
	v_add_co_u32 v108, s0, v170, v144
	s_wait_alu 0xf1ff
	v_add_co_ci_u32_e64 v109, s0, v171, v145, s0
	;; [unrolled: 3-line block ×3, first 2 shown]
	s_clause 0x17
	global_store_b128 v[211:212], v[12:15], off offset:10816
	global_store_b128 v[211:212], v[8:11], off offset:16224
	global_store_b128 v[211:212], v[56:59], off
	global_store_b128 v[211:212], v[52:55], off offset:5408
	global_store_b128 v[209:210], v[60:63], off
	global_store_b128 v[191:192], v[48:51], off
	;; [unrolled: 1-line block ×20, first 2 shown]
	s_and_b32 exec_lo, exec_lo, vcc_lo
	s_cbranch_execz .LBB0_20
; %bb.19:
	v_mul_i32_i24_e32 v188, 3, v197
	v_mov_b32_e32 v169, v189
	s_delay_alu instid0(VALU_DEP_2) | instskip(SKIP_1) | instid1(VALU_DEP_2)
	v_lshlrev_b64_e32 v[0:1], 4, v[188:189]
	v_add_nc_u32_e32 v188, 0x28a, v190
	v_add_co_u32 v8, vcc_lo, s4, v0
	s_wait_alu 0xfffd
	s_delay_alu instid0(VALU_DEP_3)
	v_add_co_ci_u32_e32 v9, vcc_lo, s5, v1, vcc_lo
	s_clause 0x2
	global_load_b128 v[0:3], v[8:9], off offset:5376
	global_load_b128 v[4:7], v[8:9], off offset:5392
	;; [unrolled: 1-line block ×3, first 2 shown]
	s_wait_loadcnt 0x2
	v_mul_f64_e32 v[12:13], v[182:183], v[2:3]
	v_mul_f64_e32 v[2:3], v[174:175], v[2:3]
	s_wait_loadcnt 0x1
	v_mul_f64_e32 v[14:15], v[184:185], v[6:7]
	v_mul_f64_e32 v[6:7], v[176:177], v[6:7]
	;; [unrolled: 3-line block ×3, first 2 shown]
	v_fma_f64 v[12:13], v[174:175], v[0:1], -v[12:13]
	v_fma_f64 v[0:1], v[182:183], v[0:1], v[2:3]
	v_fma_f64 v[2:3], v[176:177], v[4:5], -v[14:15]
	v_fma_f64 v[4:5], v[184:185], v[4:5], v[6:7]
	;; [unrolled: 2-line block ×3, first 2 shown]
	s_delay_alu instid0(VALU_DEP_4) | instskip(NEXT) | instid1(VALU_DEP_4)
	v_add_f64_e64 v[10:11], v[172:173], -v[2:3]
	v_add_f64_e64 v[16:17], v[180:181], -v[4:5]
	s_delay_alu instid0(VALU_DEP_4) | instskip(NEXT) | instid1(VALU_DEP_4)
	v_add_f64_e64 v[2:3], v[12:13], -v[6:7]
	v_add_f64_e64 v[4:5], v[0:1], -v[8:9]
	s_delay_alu instid0(VALU_DEP_4) | instskip(NEXT) | instid1(VALU_DEP_4)
	v_fma_f64 v[14:15], v[172:173], 2.0, -v[10:11]
	v_fma_f64 v[18:19], v[180:181], 2.0, -v[16:17]
	s_delay_alu instid0(VALU_DEP_4) | instskip(NEXT) | instid1(VALU_DEP_4)
	v_fma_f64 v[6:7], v[12:13], 2.0, -v[2:3]
	v_fma_f64 v[8:9], v[0:1], 2.0, -v[4:5]
	v_add_f64_e64 v[0:1], v[10:11], -v[4:5]
	v_add_f64_e32 v[2:3], v[16:17], v[2:3]
	s_delay_alu instid0(VALU_DEP_4) | instskip(NEXT) | instid1(VALU_DEP_4)
	v_add_f64_e64 v[4:5], v[14:15], -v[6:7]
	v_add_f64_e64 v[6:7], v[18:19], -v[8:9]
	s_delay_alu instid0(VALU_DEP_4) | instskip(NEXT) | instid1(VALU_DEP_4)
	v_fma_f64 v[8:9], v[10:11], 2.0, -v[0:1]
	v_fma_f64 v[10:11], v[16:17], 2.0, -v[2:3]
	v_lshlrev_b64_e32 v[16:17], 4, v[168:169]
	s_delay_alu instid0(VALU_DEP_1) | instskip(SKIP_1) | instid1(VALU_DEP_2)
	v_add_co_u32 v16, vcc_lo, v170, v16
	s_wait_alu 0xfffd
	v_add_co_ci_u32_e32 v17, vcc_lo, v171, v17, vcc_lo
	v_fma_f64 v[12:13], v[14:15], 2.0, -v[4:5]
	v_fma_f64 v[14:15], v[18:19], 2.0, -v[6:7]
	v_lshlrev_b64_e32 v[18:19], 4, v[188:189]
	v_add_nc_u32_e32 v188, 0x3dc, v190
	s_delay_alu instid0(VALU_DEP_1) | instskip(SKIP_1) | instid1(VALU_DEP_4)
	v_lshlrev_b64_e32 v[20:21], 4, v[188:189]
	v_add_nc_u32_e32 v188, 0x52e, v190
	v_add_co_u32 v18, vcc_lo, v170, v18
	s_wait_alu 0xfffd
	v_add_co_ci_u32_e32 v19, vcc_lo, v171, v19, vcc_lo
	s_delay_alu instid0(VALU_DEP_3) | instskip(SKIP_3) | instid1(VALU_DEP_3)
	v_lshlrev_b64_e32 v[22:23], 4, v[188:189]
	v_add_co_u32 v20, vcc_lo, v170, v20
	s_wait_alu 0xfffd
	v_add_co_ci_u32_e32 v21, vcc_lo, v171, v21, vcc_lo
	v_add_co_u32 v22, vcc_lo, v170, v22
	s_wait_alu 0xfffd
	v_add_co_ci_u32_e32 v23, vcc_lo, v171, v23, vcc_lo
	s_clause 0x3
	global_store_b128 v[16:17], v[12:15], off
	global_store_b128 v[18:19], v[8:11], off
	;; [unrolled: 1-line block ×4, first 2 shown]
.LBB0_20:
	s_nop 0
	s_sendmsg sendmsg(MSG_DEALLOC_VGPRS)
	s_endpgm
	.section	.rodata,"a",@progbits
	.p2align	6, 0x0
	.amdhsa_kernel fft_rtc_fwd_len1352_factors_2_13_13_4_wgs_52_tpt_52_halfLds_dp_op_CI_CI_unitstride_sbrr_dirReg
		.amdhsa_group_segment_fixed_size 0
		.amdhsa_private_segment_fixed_size 52
		.amdhsa_kernarg_size 104
		.amdhsa_user_sgpr_count 2
		.amdhsa_user_sgpr_dispatch_ptr 0
		.amdhsa_user_sgpr_queue_ptr 0
		.amdhsa_user_sgpr_kernarg_segment_ptr 1
		.amdhsa_user_sgpr_dispatch_id 0
		.amdhsa_user_sgpr_private_segment_size 0
		.amdhsa_wavefront_size32 1
		.amdhsa_uses_dynamic_stack 0
		.amdhsa_enable_private_segment 1
		.amdhsa_system_sgpr_workgroup_id_x 1
		.amdhsa_system_sgpr_workgroup_id_y 0
		.amdhsa_system_sgpr_workgroup_id_z 0
		.amdhsa_system_sgpr_workgroup_info 0
		.amdhsa_system_vgpr_workitem_id 0
		.amdhsa_next_free_vgpr 256
		.amdhsa_next_free_sgpr 46
		.amdhsa_reserve_vcc 1
		.amdhsa_float_round_mode_32 0
		.amdhsa_float_round_mode_16_64 0
		.amdhsa_float_denorm_mode_32 3
		.amdhsa_float_denorm_mode_16_64 3
		.amdhsa_fp16_overflow 0
		.amdhsa_workgroup_processor_mode 1
		.amdhsa_memory_ordered 1
		.amdhsa_forward_progress 0
		.amdhsa_round_robin_scheduling 0
		.amdhsa_exception_fp_ieee_invalid_op 0
		.amdhsa_exception_fp_denorm_src 0
		.amdhsa_exception_fp_ieee_div_zero 0
		.amdhsa_exception_fp_ieee_overflow 0
		.amdhsa_exception_fp_ieee_underflow 0
		.amdhsa_exception_fp_ieee_inexact 0
		.amdhsa_exception_int_div_zero 0
	.end_amdhsa_kernel
	.text
.Lfunc_end0:
	.size	fft_rtc_fwd_len1352_factors_2_13_13_4_wgs_52_tpt_52_halfLds_dp_op_CI_CI_unitstride_sbrr_dirReg, .Lfunc_end0-fft_rtc_fwd_len1352_factors_2_13_13_4_wgs_52_tpt_52_halfLds_dp_op_CI_CI_unitstride_sbrr_dirReg
                                        ; -- End function
	.section	.AMDGPU.csdata,"",@progbits
; Kernel info:
; codeLenInByte = 20632
; NumSgprs: 48
; NumVgprs: 256
; ScratchSize: 52
; MemoryBound: 1
; FloatMode: 240
; IeeeMode: 1
; LDSByteSize: 0 bytes/workgroup (compile time only)
; SGPRBlocks: 5
; VGPRBlocks: 31
; NumSGPRsForWavesPerEU: 48
; NumVGPRsForWavesPerEU: 256
; Occupancy: 5
; WaveLimiterHint : 1
; COMPUTE_PGM_RSRC2:SCRATCH_EN: 1
; COMPUTE_PGM_RSRC2:USER_SGPR: 2
; COMPUTE_PGM_RSRC2:TRAP_HANDLER: 0
; COMPUTE_PGM_RSRC2:TGID_X_EN: 1
; COMPUTE_PGM_RSRC2:TGID_Y_EN: 0
; COMPUTE_PGM_RSRC2:TGID_Z_EN: 0
; COMPUTE_PGM_RSRC2:TIDIG_COMP_CNT: 0
	.text
	.p2alignl 7, 3214868480
	.fill 96, 4, 3214868480
	.type	__hip_cuid_84ad6f032baf7465,@object ; @__hip_cuid_84ad6f032baf7465
	.section	.bss,"aw",@nobits
	.globl	__hip_cuid_84ad6f032baf7465
__hip_cuid_84ad6f032baf7465:
	.byte	0                               ; 0x0
	.size	__hip_cuid_84ad6f032baf7465, 1

	.ident	"AMD clang version 19.0.0git (https://github.com/RadeonOpenCompute/llvm-project roc-6.4.0 25133 c7fe45cf4b819c5991fe208aaa96edf142730f1d)"
	.section	".note.GNU-stack","",@progbits
	.addrsig
	.addrsig_sym __hip_cuid_84ad6f032baf7465
	.amdgpu_metadata
---
amdhsa.kernels:
  - .args:
      - .actual_access:  read_only
        .address_space:  global
        .offset:         0
        .size:           8
        .value_kind:     global_buffer
      - .offset:         8
        .size:           8
        .value_kind:     by_value
      - .actual_access:  read_only
        .address_space:  global
        .offset:         16
        .size:           8
        .value_kind:     global_buffer
      - .actual_access:  read_only
        .address_space:  global
        .offset:         24
        .size:           8
        .value_kind:     global_buffer
      - .actual_access:  read_only
        .address_space:  global
        .offset:         32
        .size:           8
        .value_kind:     global_buffer
      - .offset:         40
        .size:           8
        .value_kind:     by_value
      - .actual_access:  read_only
        .address_space:  global
        .offset:         48
        .size:           8
        .value_kind:     global_buffer
      - .actual_access:  read_only
        .address_space:  global
        .offset:         56
        .size:           8
        .value_kind:     global_buffer
      - .offset:         64
        .size:           4
        .value_kind:     by_value
      - .actual_access:  read_only
        .address_space:  global
        .offset:         72
        .size:           8
        .value_kind:     global_buffer
      - .actual_access:  read_only
        .address_space:  global
        .offset:         80
        .size:           8
        .value_kind:     global_buffer
      - .actual_access:  read_only
        .address_space:  global
        .offset:         88
        .size:           8
        .value_kind:     global_buffer
      - .actual_access:  write_only
        .address_space:  global
        .offset:         96
        .size:           8
        .value_kind:     global_buffer
    .group_segment_fixed_size: 0
    .kernarg_segment_align: 8
    .kernarg_segment_size: 104
    .language:       OpenCL C
    .language_version:
      - 2
      - 0
    .max_flat_workgroup_size: 52
    .name:           fft_rtc_fwd_len1352_factors_2_13_13_4_wgs_52_tpt_52_halfLds_dp_op_CI_CI_unitstride_sbrr_dirReg
    .private_segment_fixed_size: 52
    .sgpr_count:     48
    .sgpr_spill_count: 0
    .symbol:         fft_rtc_fwd_len1352_factors_2_13_13_4_wgs_52_tpt_52_halfLds_dp_op_CI_CI_unitstride_sbrr_dirReg.kd
    .uniform_work_group_size: 1
    .uses_dynamic_stack: false
    .vgpr_count:     256
    .vgpr_spill_count: 12
    .wavefront_size: 32
    .workgroup_processor_mode: 1
amdhsa.target:   amdgcn-amd-amdhsa--gfx1201
amdhsa.version:
  - 1
  - 2
...

	.end_amdgpu_metadata
